;; amdgpu-corpus repo=ROCm/rocFFT kind=compiled arch=gfx906 opt=O3
	.text
	.amdgcn_target "amdgcn-amd-amdhsa--gfx906"
	.amdhsa_code_object_version 6
	.protected	bluestein_single_back_len884_dim1_dp_op_CI_CI ; -- Begin function bluestein_single_back_len884_dim1_dp_op_CI_CI
	.globl	bluestein_single_back_len884_dim1_dp_op_CI_CI
	.p2align	8
	.type	bluestein_single_back_len884_dim1_dp_op_CI_CI,@function
bluestein_single_back_len884_dim1_dp_op_CI_CI: ; @bluestein_single_back_len884_dim1_dp_op_CI_CI
; %bb.0:
	v_mul_u32_u24_e32 v1, 0x3c4, v0
	s_mov_b64 s[66:67], s[2:3]
	s_load_dwordx4 s[16:19], s[4:5], 0x28
	v_lshrrev_b32_e32 v1, 16, v1
	s_mov_b64 s[64:65], s[0:1]
	v_mad_u64_u32 v[232:233], s[0:1], s6, 3, v[1:2]
	v_mov_b32_e32 v233, 0
	s_add_u32 s64, s64, s7
	s_waitcnt lgkmcnt(0)
	v_cmp_gt_u64_e32 vcc, s[16:17], v[232:233]
	s_addc_u32 s65, s65, 0
	s_and_saveexec_b64 s[0:1], vcc
	s_cbranch_execz .LBB0_18
; %bb.1:
	s_load_dwordx4 s[0:3], s[4:5], 0x18
	s_load_dwordx4 s[12:15], s[4:5], 0x0
	v_mul_lo_u16_e32 v1, 0x44, v1
	v_sub_u16_e32 v114, v0, v1
	s_mov_b32 s16, 0xe00740e9
	s_waitcnt lgkmcnt(0)
	s_load_dwordx4 s[8:11], s[0:1], 0x0
	v_mov_b32_e32 v7, s13
	s_mov_b32 s17, 0x3fec55a7
	s_mov_b32 s26, 0x42a4c3d2
	;; [unrolled: 1-line block ×3, first 2 shown]
	s_waitcnt lgkmcnt(0)
	v_mad_u64_u32 v[0:1], s[0:1], s10, v232, 0
	v_mad_u64_u32 v[2:3], s[0:1], s8, v114, 0
	s_mul_hi_u32 s6, s8, 0x440
	s_mul_i32 s7, s8, 0x440
	v_mad_u64_u32 v[4:5], s[0:1], s11, v232, v[1:2]
	s_mov_b32 s20, 0x2ef20147
	s_mov_b32 s24, 0x24c2f84
	v_mad_u64_u32 v[5:6], s[0:1], s9, v114, v[3:4]
	v_mov_b32_e32 v1, v4
	v_lshlrev_b64 v[0:1], 4, v[0:1]
	v_mov_b32_e32 v3, v5
	v_mov_b32_e32 v6, s19
	v_lshlrev_b64 v[2:3], 4, v[2:3]
	v_add_co_u32_e32 v0, vcc, s18, v0
	v_addc_co_u32_e32 v1, vcc, v6, v1, vcc
	v_add_co_u32_e32 v5, vcc, v0, v2
	v_addc_co_u32_e32 v6, vcc, v1, v3, vcc
	global_load_dwordx4 v[1:4], v[5:6], off
	v_lshlrev_b32_e32 v0, 4, v114
	global_load_dwordx4 v[58:61], v0, s[12:13]
	global_load_dwordx4 v[98:101], v0, s[12:13] offset:1088
	v_add_co_u32_e32 v250, vcc, s12, v0
	v_addc_co_u32_e64 v54, s[0:1], 0, v7, vcc
	s_mul_i32 s0, s9, 0x440
	s_add_i32 s6, s6, s0
	v_mov_b32_e32 v7, s6
	v_add_co_u32_e64 v13, s[0:1], s7, v5
	v_addc_co_u32_e64 v14, s[0:1], v6, v7, s[0:1]
	v_mov_b32_e32 v5, s6
	v_add_co_u32_e64 v15, s[0:1], s7, v13
	v_addc_co_u32_e64 v16, s[0:1], v14, v5, s[0:1]
	global_load_dwordx4 v[5:8], v[13:14], off
	global_load_dwordx4 v[9:12], v[15:16], off
	v_mov_b32_e32 v13, s6
	v_add_co_u32_e64 v21, s[0:1], s7, v15
	v_addc_co_u32_e64 v22, s[0:1], v16, v13, s[0:1]
	v_add_co_u32_e64 v23, s[0:1], s7, v21
	v_addc_co_u32_e64 v24, s[0:1], v22, v13, s[0:1]
	s_movk_i32 s0, 0x1000
	v_add_co_u32_e64 v33, s[0:1], s0, v250
	v_addc_co_u32_e64 v34, s[0:1], 0, v54, s[0:1]
	global_load_dwordx4 v[74:77], v0, s[12:13] offset:2176
	global_load_dwordx4 v[86:89], v0, s[12:13] offset:3264
	global_load_dwordx4 v[13:16], v[21:22], off
	global_load_dwordx4 v[17:20], v[23:24], off
	v_mov_b32_e32 v21, s6
	v_add_co_u32_e64 v25, s[0:1], s7, v23
	v_addc_co_u32_e64 v26, s[0:1], v24, v21, s[0:1]
	v_mov_b32_e32 v27, s6
	v_add_co_u32_e64 v29, s[0:1], s7, v25
	v_addc_co_u32_e64 v30, s[0:1], v26, v27, s[0:1]
	v_mov_b32_e32 v31, s6
	v_add_co_u32_e64 v35, s[0:1], s7, v29
	v_addc_co_u32_e64 v36, s[0:1], v30, v31, s[0:1]
	global_load_dwordx4 v[21:24], v[25:26], off
	global_load_dwordx4 v[110:113], v[33:34], off offset:256
	global_load_dwordx4 v[90:93], v[33:34], off offset:1344
	v_add_co_u32_e64 v37, s[0:1], s7, v35
	global_load_dwordx4 v[25:28], v[29:30], off
	s_nop 0
	global_load_dwordx4 v[29:32], v[35:36], off
	global_load_dwordx4 v[102:105], v[33:34], off offset:2432
	global_load_dwordx4 v[78:81], v[33:34], off offset:3520
	v_mov_b32_e32 v33, s6
	v_addc_co_u32_e64 v38, s[0:1], v36, v33, s[0:1]
	s_movk_i32 s0, 0x2000
	v_add_co_u32_e64 v49, s[0:1], s0, v250
	v_addc_co_u32_e64 v50, s[0:1], 0, v54, s[0:1]
	v_mov_b32_e32 v39, s6
	v_add_co_u32_e64 v41, s[0:1], s7, v37
	v_addc_co_u32_e64 v42, s[0:1], v38, v39, s[0:1]
	v_mov_b32_e32 v43, s6
	;; [unrolled: 3-line block ×3, first 2 shown]
	v_add_co_u32_e64 v51, s[0:1], s7, v45
	v_addc_co_u32_e64 v52, s[0:1], v46, v47, s[0:1]
	global_load_dwordx4 v[33:36], v[37:38], off
	s_nop 0
	global_load_dwordx4 v[37:40], v[41:42], off
	global_load_dwordx4 v[106:109], v[49:50], off offset:512
	global_load_dwordx4 v[82:85], v[49:50], off offset:1600
	s_waitcnt vmcnt(18)
	v_mul_f64 v[55:56], v[1:2], v[60:61]
	global_load_dwordx4 v[41:44], v[45:46], off
	s_nop 0
	global_load_dwordx4 v[45:48], v[51:52], off
	global_load_dwordx4 v[115:118], v[49:50], off offset:2688
	global_load_dwordx4 v[70:73], v[49:50], off offset:3776
	v_mov_b32_e32 v50, s6
	v_add_co_u32_e64 v49, s[0:1], s7, v51
	v_addc_co_u32_e64 v50, s[0:1], v52, v50, s[0:1]
	s_movk_i32 s0, 0x3000
	v_add_co_u32_e64 v53, s[0:1], s0, v250
	v_addc_co_u32_e64 v54, s[0:1], 0, v54, s[0:1]
	global_load_dwordx4 v[94:97], v[53:54], off offset:768
	v_mul_f64 v[53:54], v[3:4], v[60:61]
	global_load_dwordx4 v[49:52], v[49:50], off
	s_load_dwordx4 s[8:11], s[2:3], 0x0
	s_mov_b32 s0, 0xaaaaaaab
	v_mul_hi_u32 v57, v232, s0
	s_mov_b32 s19, 0xbfddbe06
	s_mov_b32 s18, 0x4267c47c
	;; [unrolled: 1-line block ×3, first 2 shown]
	v_fma_f64 v[1:2], v[1:2], v[58:59], v[53:54]
	buffer_store_dword v58, off, s[64:67], 0 offset:200 ; 4-byte Folded Spill
	s_nop 0
	buffer_store_dword v59, off, s[64:67], 0 offset:204 ; 4-byte Folded Spill
	buffer_store_dword v60, off, s[64:67], 0 offset:208 ; 4-byte Folded Spill
	;; [unrolled: 1-line block ×3, first 2 shown]
	v_lshrrev_b32_e32 v57, 1, v57
	v_lshl_add_u32 v57, v57, 1, v57
	s_waitcnt vmcnt(26)
	v_mul_f64 v[53:54], v[7:8], v[100:101]
	v_sub_u32_e32 v69, v232, v57
	s_mov_b32 s27, 0xbfea55e2
	s_mov_b32 s37, 0xbfefc445
	;; [unrolled: 1-line block ×5, first 2 shown]
	s_waitcnt vmcnt(22)
	v_mul_f64 v[61:62], v[15:16], v[88:89]
	v_mul_f64 v[63:64], v[13:14], v[88:89]
	s_load_dwordx2 s[6:7], s[4:5], 0x38
	s_mov_b32 s2, 0x1ea71119
	s_mov_b32 s0, 0xebaa3ed8
	;; [unrolled: 1-line block ×5, first 2 shown]
	v_fma_f64 v[13:14], v[13:14], v[86:87], v[61:62]
	s_mov_b32 s3, 0x3fe22d96
	s_mov_b32 s1, 0x3fbedb7d
	s_mov_b32 s5, 0xbfd6b1d8
	s_mov_b32 s23, 0xbfe7f3cc
	s_mov_b32 s31, 0xbfef11f4
	s_mov_b32 s39, 0x3fe5384d
	s_mov_b32 s38, s24
	s_waitcnt vmcnt(19)
	v_mul_f64 v[65:66], v[19:20], v[112:113]
	v_mul_f64 v[67:68], v[17:18], v[112:113]
	s_mov_b32 s29, 0x3fefc445
	s_mov_b32 s28, s36
	;; [unrolled: 1-line block ×4, first 2 shown]
                                        ; implicit-def: $vgpr160_vgpr161
                                        ; implicit-def: $vgpr156_vgpr157
                                        ; implicit-def: $vgpr152_vgpr153
	v_fma_f64 v[17:18], v[17:18], v[110:111], v[65:66]
	v_fma_f64 v[3:4], v[3:4], v[58:59], -v[55:56]
	v_mul_f64 v[57:58], v[11:12], v[76:77]
	v_mul_f64 v[55:56], v[5:6], v[100:101]
	v_fma_f64 v[5:6], v[5:6], v[98:99], v[53:54]
	buffer_store_dword v98, off, s[64:67], 0 offset:120 ; 4-byte Folded Spill
	s_nop 0
	buffer_store_dword v99, off, s[64:67], 0 offset:124 ; 4-byte Folded Spill
	buffer_store_dword v100, off, s[64:67], 0 offset:128 ; 4-byte Folded Spill
	;; [unrolled: 1-line block ×3, first 2 shown]
	v_mul_f64 v[59:60], v[9:10], v[76:77]
	v_mul_u32_u24_e32 v53, 0x374, v69
	v_lshlrev_b32_e32 v119, 4, v53
	v_add_u32_e32 v255, v0, v119
	v_fma_f64 v[9:10], v[9:10], v[74:75], v[57:58]
	buffer_store_dword v74, off, s[64:67], 0 offset:24 ; 4-byte Folded Spill
	s_nop 0
	buffer_store_dword v75, off, s[64:67], 0 offset:28 ; 4-byte Folded Spill
	buffer_store_dword v76, off, s[64:67], 0 offset:32 ; 4-byte Folded Spill
	buffer_store_dword v77, off, s[64:67], 0 offset:36 ; 4-byte Folded Spill
	buffer_store_dword v86, off, s[64:67], 0 offset:72 ; 4-byte Folded Spill
	s_nop 0
	buffer_store_dword v87, off, s[64:67], 0 offset:76 ; 4-byte Folded Spill
	buffer_store_dword v88, off, s[64:67], 0 offset:80 ; 4-byte Folded Spill
	buffer_store_dword v89, off, s[64:67], 0 offset:84 ; 4-byte Folded Spill
	;; [unrolled: 5-line block ×3, first 2 shown]
	v_fma_f64 v[7:8], v[7:8], v[98:99], -v[55:56]
	v_fma_f64 v[11:12], v[11:12], v[74:75], -v[59:60]
	;; [unrolled: 1-line block ×4, first 2 shown]
	ds_write_b128 v255, v[1:4]
	ds_write_b128 v255, v[5:8] offset:1088
	ds_write_b128 v255, v[9:12] offset:2176
	;; [unrolled: 1-line block ×4, first 2 shown]
	s_waitcnt vmcnt(34)
	v_mul_f64 v[1:2], v[23:24], v[92:93]
	s_waitcnt vmcnt(31)
	v_mul_f64 v[5:6], v[27:28], v[104:105]
	s_waitcnt vmcnt(30)
	v_mul_f64 v[9:10], v[31:32], v[80:81]
	v_mul_f64 v[3:4], v[21:22], v[92:93]
	v_mul_f64 v[7:8], v[25:26], v[104:105]
	;; [unrolled: 1-line block ×3, first 2 shown]
	s_waitcnt vmcnt(27)
	v_mul_f64 v[13:14], v[35:36], v[108:109]
	s_waitcnt vmcnt(26)
	v_mul_f64 v[17:18], v[39:40], v[84:85]
	v_fma_f64 v[1:2], v[21:22], v[90:91], v[1:2]
	buffer_store_dword v90, off, s[64:67], 0 offset:88 ; 4-byte Folded Spill
	s_nop 0
	buffer_store_dword v91, off, s[64:67], 0 offset:92 ; 4-byte Folded Spill
	buffer_store_dword v92, off, s[64:67], 0 offset:96 ; 4-byte Folded Spill
	buffer_store_dword v93, off, s[64:67], 0 offset:100 ; 4-byte Folded Spill
	v_fma_f64 v[5:6], v[25:26], v[102:103], v[5:6]
	buffer_store_dword v102, off, s[64:67], 0 offset:136 ; 4-byte Folded Spill
	s_nop 0
	buffer_store_dword v103, off, s[64:67], 0 offset:140 ; 4-byte Folded Spill
	buffer_store_dword v104, off, s[64:67], 0 offset:144 ; 4-byte Folded Spill
	buffer_store_dword v105, off, s[64:67], 0 offset:148 ; 4-byte Folded Spill
	;; [unrolled: 6-line block ×3, first 2 shown]
	s_waitcnt vmcnt(35)
	v_mul_f64 v[21:22], v[43:44], v[117:118]
	s_waitcnt vmcnt(34)
	v_mul_f64 v[25:26], v[47:48], v[72:73]
	;; [unrolled: 2-line block ×3, first 2 shown]
	v_mul_f64 v[15:16], v[33:34], v[108:109]
	v_fma_f64 v[13:14], v[33:34], v[106:107], v[13:14]
	buffer_store_dword v106, off, s[64:67], 0 offset:152 ; 4-byte Folded Spill
	s_nop 0
	buffer_store_dword v107, off, s[64:67], 0 offset:156 ; 4-byte Folded Spill
	buffer_store_dword v108, off, s[64:67], 0 offset:160 ; 4-byte Folded Spill
	;; [unrolled: 1-line block ×3, first 2 shown]
	v_mul_f64 v[19:20], v[37:38], v[84:85]
	v_fma_f64 v[17:18], v[37:38], v[82:83], v[17:18]
	buffer_store_dword v82, off, s[64:67], 0 offset:56 ; 4-byte Folded Spill
	s_nop 0
	buffer_store_dword v83, off, s[64:67], 0 offset:60 ; 4-byte Folded Spill
	buffer_store_dword v84, off, s[64:67], 0 offset:64 ; 4-byte Folded Spill
	;; [unrolled: 1-line block ×3, first 2 shown]
	v_fma_f64 v[21:22], v[41:42], v[115:116], v[21:22]
	v_fma_f64 v[25:26], v[45:46], v[70:71], v[25:26]
	;; [unrolled: 1-line block ×3, first 2 shown]
	v_fma_f64 v[3:4], v[23:24], v[90:91], -v[3:4]
	v_mul_f64 v[23:24], v[41:42], v[117:118]
	buffer_store_dword v115, off, s[64:67], 0 offset:184 ; 4-byte Folded Spill
	s_nop 0
	buffer_store_dword v116, off, s[64:67], 0 offset:188 ; 4-byte Folded Spill
	buffer_store_dword v117, off, s[64:67], 0 offset:192 ; 4-byte Folded Spill
	buffer_store_dword v118, off, s[64:67], 0 offset:196 ; 4-byte Folded Spill
	v_fma_f64 v[7:8], v[27:28], v[102:103], -v[7:8]
	v_mul_f64 v[27:28], v[45:46], v[72:73]
	buffer_store_dword v70, off, s[64:67], 0 offset:8 ; 4-byte Folded Spill
	s_nop 0
	buffer_store_dword v71, off, s[64:67], 0 offset:12 ; 4-byte Folded Spill
	buffer_store_dword v72, off, s[64:67], 0 offset:16 ; 4-byte Folded Spill
	buffer_store_dword v73, off, s[64:67], 0 offset:20 ; 4-byte Folded Spill
	;; [unrolled: 7-line block ×3, first 2 shown]
	v_fma_f64 v[15:16], v[35:36], v[106:107], -v[15:16]
	v_fma_f64 v[19:20], v[39:40], v[82:83], -v[19:20]
	;; [unrolled: 1-line block ×5, first 2 shown]
	ds_write_b128 v255, v[1:4] offset:5440
	ds_write_b128 v255, v[5:8] offset:6528
	;; [unrolled: 1-line block ×8, first 2 shown]
	s_waitcnt vmcnt(0) lgkmcnt(0)
	s_barrier
	ds_read_b128 v[1:4], v255
	ds_read_b128 v[5:8], v255 offset:1088
	ds_read_b128 v[9:12], v255 offset:2176
	;; [unrolled: 1-line block ×5, first 2 shown]
	s_waitcnt lgkmcnt(4)
	v_add_f64 v[13:14], v[1:2], v[5:6]
	v_add_f64 v[15:16], v[3:4], v[7:8]
	ds_read_b128 v[68:71], v255 offset:8704
	s_waitcnt lgkmcnt(4)
	v_add_f64 v[17:18], v[13:14], v[9:10]
	v_add_f64 v[19:20], v[15:16], v[11:12]
	ds_read_b128 v[13:16], v255 offset:3264
	;; [unrolled: 4-line block ×3, first 2 shown]
	s_waitcnt lgkmcnt(0)
	v_add_f64 v[21:22], v[21:22], v[17:18]
	v_add_f64 v[23:24], v[23:24], v[19:20]
	;; [unrolled: 1-line block ×10, first 2 shown]
	ds_read_b128 v[21:24], v255 offset:9792
	ds_read_b128 v[25:28], v255 offset:13056
	s_waitcnt lgkmcnt(0)
	v_add_f64 v[41:42], v[7:8], -v[27:28]
	v_add_f64 v[37:38], v[29:30], v[21:22]
	v_add_f64 v[39:40], v[31:32], v[23:24]
	v_add_f64 v[43:44], v[5:6], -v[25:26]
	ds_read_b128 v[29:32], v255 offset:10880
	ds_read_b128 v[33:36], v255 offset:11968
	v_add_f64 v[5:6], v[5:6], v[25:26]
	v_add_f64 v[7:8], v[7:8], v[27:28]
	s_waitcnt lgkmcnt(0)
	v_mul_f64 v[45:46], v[41:42], s[18:19]
	v_add_f64 v[37:38], v[37:38], v[29:30]
	v_add_f64 v[39:40], v[39:40], v[31:32]
	v_mul_f64 v[47:48], v[43:44], s[18:19]
	v_mul_f64 v[82:83], v[41:42], s[20:21]
	v_mul_f64 v[84:85], v[43:44], s[20:21]
	v_mul_f64 v[86:87], v[41:42], s[24:25]
	v_mul_f64 v[88:89], v[43:44], s[24:25]
	v_fma_f64 v[49:50], v[5:6], s[16:17], -v[45:46]
	v_add_f64 v[37:38], v[37:38], v[33:34]
	v_add_f64 v[39:40], v[39:40], v[35:36]
	v_fma_f64 v[72:73], v[7:8], s[16:17], v[47:48]
	v_add_f64 v[98:99], v[11:12], -v[35:36]
	v_add_f64 v[100:101], v[9:10], -v[33:34]
	v_fma_f64 v[90:91], v[5:6], s[4:5], -v[82:83]
	v_fma_f64 v[92:93], v[7:8], s[4:5], v[84:85]
	v_fma_f64 v[82:83], v[5:6], s[4:5], v[82:83]
	v_add_f64 v[52:53], v[37:38], v[25:26]
	v_add_f64 v[54:55], v[39:40], v[27:28]
	;; [unrolled: 1-line block ×4, first 2 shown]
	v_fma_f64 v[37:38], v[5:6], s[16:17], v[45:46]
	v_fma_f64 v[39:40], v[7:8], s[16:17], -v[47:48]
	v_mul_f64 v[45:46], v[41:42], s[26:27]
	v_mul_f64 v[47:48], v[43:44], s[26:27]
	v_mul_f64 v[49:50], v[41:42], s[36:37]
	v_mul_f64 v[72:73], v[43:44], s[36:37]
	v_mul_f64 v[41:42], v[41:42], s[34:35]
	v_mul_f64 v[43:44], v[43:44], s[34:35]
	v_fma_f64 v[84:85], v[7:8], s[4:5], -v[84:85]
	v_fma_f64 v[94:95], v[5:6], s[22:23], -v[86:87]
	;; [unrolled: 1-line block ×3, first 2 shown]
	v_fma_f64 v[76:77], v[7:8], s[2:3], v[47:48]
	v_fma_f64 v[45:46], v[5:6], s[2:3], v[45:46]
	v_fma_f64 v[47:48], v[7:8], s[2:3], -v[47:48]
	v_fma_f64 v[78:79], v[5:6], s[0:1], -v[49:50]
	v_fma_f64 v[80:81], v[7:8], s[0:1], v[72:73]
	v_fma_f64 v[49:50], v[5:6], s[0:1], v[49:50]
	v_fma_f64 v[72:73], v[7:8], s[0:1], -v[72:73]
	v_fma_f64 v[96:97], v[7:8], s[22:23], v[88:89]
	v_fma_f64 v[86:87], v[5:6], s[22:23], v[86:87]
	v_fma_f64 v[88:89], v[7:8], s[22:23], -v[88:89]
	v_add_f64 v[9:10], v[9:10], v[33:34]
	v_add_f64 v[11:12], v[11:12], v[35:36]
	v_mul_f64 v[33:34], v[98:99], s[26:27]
	v_mul_f64 v[35:36], v[100:101], s[26:27]
	v_fma_f64 v[102:103], v[5:6], s[30:31], -v[41:42]
	v_fma_f64 v[104:105], v[7:8], s[30:31], v[43:44]
	v_fma_f64 v[5:6], v[5:6], s[30:31], v[41:42]
	v_fma_f64 v[7:8], v[7:8], s[30:31], -v[43:44]
	v_add_f64 v[37:38], v[1:2], v[37:38]
	v_add_f64 v[39:40], v[3:4], v[39:40]
	;; [unrolled: 1-line block ×18, first 2 shown]
	v_fma_f64 v[86:87], v[9:10], s[2:3], -v[33:34]
	v_fma_f64 v[88:89], v[11:12], s[2:3], v[35:36]
	v_add_f64 v[102:103], v[1:2], v[102:103]
	v_add_f64 v[104:105], v[3:4], v[104:105]
	;; [unrolled: 1-line block ×4, first 2 shown]
	v_mul_f64 v[5:6], v[98:99], s[20:21]
	v_mul_f64 v[7:8], v[100:101], s[20:21]
	v_add_f64 v[25:26], v[86:87], v[25:26]
	v_add_f64 v[27:28], v[88:89], v[27:28]
	v_mul_f64 v[86:87], v[98:99], s[34:35]
	v_mul_f64 v[88:89], v[100:101], s[34:35]
	v_fma_f64 v[33:34], v[9:10], s[2:3], v[33:34]
	v_fma_f64 v[35:36], v[11:12], s[2:3], -v[35:36]
	v_fma_f64 v[106:107], v[9:10], s[4:5], -v[5:6]
	v_fma_f64 v[108:109], v[11:12], s[4:5], v[7:8]
	v_fma_f64 v[5:6], v[9:10], s[4:5], v[5:6]
	v_fma_f64 v[7:8], v[11:12], s[4:5], -v[7:8]
	v_fma_f64 v[110:111], v[9:10], s[30:31], -v[86:87]
	v_fma_f64 v[112:113], v[11:12], s[30:31], v[88:89]
	v_add_f64 v[33:34], v[33:34], v[37:38]
	v_add_f64 v[35:36], v[35:36], v[39:40]
	;; [unrolled: 1-line block ×4, first 2 shown]
	v_mul_f64 v[74:75], v[98:99], s[38:39]
	v_mul_f64 v[76:77], v[100:101], s[38:39]
	v_add_f64 v[5:6], v[5:6], v[45:46]
	v_add_f64 v[7:8], v[7:8], v[47:48]
	;; [unrolled: 1-line block ×4, first 2 shown]
	v_mul_f64 v[78:79], v[98:99], s[28:29]
	v_fma_f64 v[80:81], v[9:10], s[30:31], v[86:87]
	v_fma_f64 v[86:87], v[11:12], s[30:31], -v[88:89]
	v_mul_f64 v[88:89], v[100:101], s[28:29]
	v_fma_f64 v[106:107], v[9:10], s[22:23], -v[74:75]
	v_fma_f64 v[108:109], v[11:12], s[22:23], v[76:77]
	v_fma_f64 v[76:77], v[11:12], s[22:23], -v[76:77]
	v_fma_f64 v[74:75], v[9:10], s[22:23], v[74:75]
	v_fma_f64 v[110:111], v[9:10], s[0:1], -v[78:79]
	v_add_f64 v[49:50], v[80:81], v[49:50]
	v_add_f64 v[72:73], v[86:87], v[72:73]
	v_fma_f64 v[80:81], v[11:12], s[0:1], v[88:89]
	v_add_f64 v[86:87], v[106:107], v[90:91]
	v_add_f64 v[90:91], v[108:109], v[92:93]
	;; [unrolled: 1-line block ×3, first 2 shown]
	v_add_f64 v[84:85], v[15:16], -v[31:32]
	v_add_f64 v[92:93], v[13:14], -v[29:30]
	s_mov_b32 s19, 0x3fddbe06
	v_add_f64 v[74:75], v[74:75], v[82:83]
	v_add_f64 v[82:83], v[110:111], v[94:95]
	;; [unrolled: 1-line block ×3, first 2 shown]
	v_mul_f64 v[94:95], v[98:99], s[18:19]
	v_mul_f64 v[96:97], v[100:101], s[18:19]
	v_add_f64 v[13:14], v[13:14], v[29:30]
	v_add_f64 v[15:16], v[15:16], v[31:32]
	v_mul_f64 v[29:30], v[84:85], s[36:37]
	v_mul_f64 v[31:32], v[92:93], s[36:37]
	v_fma_f64 v[78:79], v[9:10], s[0:1], v[78:79]
	v_fma_f64 v[88:89], v[11:12], s[0:1], -v[88:89]
	v_fma_f64 v[98:99], v[9:10], s[16:17], -v[94:95]
	v_fma_f64 v[100:101], v[11:12], s[16:17], v[96:97]
	v_fma_f64 v[9:10], v[9:10], s[16:17], v[94:95]
	v_fma_f64 v[11:12], v[11:12], s[16:17], -v[96:97]
	v_fma_f64 v[94:95], v[13:14], s[0:1], -v[29:30]
	v_fma_f64 v[96:97], v[15:16], s[0:1], v[31:32]
	v_fma_f64 v[29:30], v[13:14], s[0:1], v[29:30]
	v_fma_f64 v[31:32], v[15:16], s[0:1], -v[31:32]
	v_add_f64 v[41:42], v[78:79], v[41:42]
	v_add_f64 v[78:79], v[98:99], v[102:103]
	;; [unrolled: 1-line block ×6, first 2 shown]
	v_mul_f64 v[25:26], v[84:85], s[34:35]
	v_mul_f64 v[94:95], v[84:85], s[40:41]
	;; [unrolled: 1-line block ×4, first 2 shown]
	v_add_f64 v[29:30], v[29:30], v[33:34]
	v_add_f64 v[31:32], v[31:32], v[35:36]
	v_add_f64 v[43:44], v[88:89], v[43:44]
	v_add_f64 v[88:89], v[100:101], v[104:105]
	v_fma_f64 v[98:99], v[13:14], s[30:31], -v[25:26]
	v_fma_f64 v[25:26], v[13:14], s[30:31], v[25:26]
	v_fma_f64 v[33:34], v[13:14], s[4:5], -v[94:95]
	v_fma_f64 v[35:36], v[15:16], s[4:5], v[96:97]
	v_fma_f64 v[100:101], v[15:16], s[30:31], v[27:28]
	v_fma_f64 v[27:28], v[15:16], s[30:31], -v[27:28]
	s_barrier
	v_add_f64 v[37:38], v[98:99], v[37:38]
	v_add_f64 v[5:6], v[25:26], v[5:6]
	v_mul_f64 v[25:26], v[84:85], s[18:19]
	v_add_f64 v[33:34], v[33:34], v[45:46]
	v_add_f64 v[35:36], v[35:36], v[47:48]
	v_fma_f64 v[45:46], v[13:14], s[4:5], v[94:95]
	v_fma_f64 v[47:48], v[15:16], s[4:5], -v[96:97]
	v_mul_f64 v[94:95], v[84:85], s[26:27]
	v_mul_f64 v[96:97], v[92:93], s[26:27]
	v_add_f64 v[7:8], v[27:28], v[7:8]
	v_mul_f64 v[27:28], v[92:93], s[18:19]
	v_fma_f64 v[98:99], v[13:14], s[16:17], -v[25:26]
	v_fma_f64 v[25:26], v[13:14], s[16:17], v[25:26]
	v_add_f64 v[45:46], v[45:46], v[49:50]
	v_add_f64 v[47:48], v[47:48], v[72:73]
	v_fma_f64 v[49:50], v[13:14], s[2:3], -v[94:95]
	v_fma_f64 v[72:73], v[15:16], s[2:3], v[96:97]
	v_add_f64 v[39:40], v[100:101], v[39:40]
	v_fma_f64 v[100:101], v[15:16], s[16:17], v[27:28]
	v_fma_f64 v[27:28], v[15:16], s[16:17], -v[27:28]
	v_add_f64 v[25:26], v[25:26], v[74:75]
	v_mul_f64 v[74:75], v[84:85], s[24:25]
	v_fma_f64 v[84:85], v[13:14], s[2:3], v[94:95]
	v_add_f64 v[49:50], v[49:50], v[82:83]
	v_add_f64 v[72:73], v[72:73], v[80:81]
	v_add_f64 v[80:81], v[19:20], -v[23:24]
	v_add_f64 v[82:83], v[17:18], -v[21:22]
	v_add_f64 v[27:28], v[27:28], v[76:77]
	v_mul_f64 v[76:77], v[92:93], s[24:25]
	v_fma_f64 v[94:95], v[13:14], s[22:23], -v[74:75]
	v_add_f64 v[17:18], v[17:18], v[21:22]
	v_add_f64 v[19:20], v[19:20], v[23:24]
	v_fma_f64 v[92:93], v[15:16], s[2:3], -v[96:97]
	v_mul_f64 v[21:22], v[80:81], s[20:21]
	v_mul_f64 v[23:24], v[82:83], s[20:21]
	v_fma_f64 v[13:14], v[13:14], s[22:23], v[74:75]
	v_fma_f64 v[96:97], v[15:16], s[22:23], v[76:77]
	v_fma_f64 v[15:16], v[15:16], s[22:23], -v[76:77]
	v_add_f64 v[41:42], v[84:85], v[41:42]
	v_add_f64 v[74:75], v[94:95], v[78:79]
	;; [unrolled: 1-line block ×3, first 2 shown]
	v_fma_f64 v[78:79], v[17:18], s[4:5], -v[21:22]
	v_fma_f64 v[84:85], v[19:20], s[4:5], v[23:24]
	v_add_f64 v[1:2], v[13:14], v[1:2]
	v_mul_f64 v[13:14], v[80:81], s[38:39]
	v_add_f64 v[3:4], v[15:16], v[3:4]
	v_mul_f64 v[15:16], v[82:83], s[38:39]
	v_fma_f64 v[21:22], v[17:18], s[4:5], v[21:22]
	v_fma_f64 v[23:24], v[19:20], s[4:5], -v[23:24]
	v_add_f64 v[9:10], v[78:79], v[9:10]
	v_add_f64 v[11:12], v[84:85], v[11:12]
	v_mul_f64 v[78:79], v[80:81], s[18:19]
	v_mul_f64 v[84:85], v[82:83], s[18:19]
	v_add_f64 v[76:77], v[96:97], v[88:89]
	v_fma_f64 v[88:89], v[17:18], s[22:23], -v[13:14]
	v_fma_f64 v[92:93], v[19:20], s[22:23], v[15:16]
	v_add_f64 v[21:22], v[21:22], v[29:30]
	v_add_f64 v[23:24], v[23:24], v[31:32]
	v_fma_f64 v[13:14], v[17:18], s[22:23], v[13:14]
	v_fma_f64 v[15:16], v[19:20], s[22:23], -v[15:16]
	v_fma_f64 v[29:30], v[17:18], s[16:17], -v[78:79]
	v_fma_f64 v[31:32], v[19:20], s[16:17], v[84:85]
	s_mov_b32 s39, 0x3fcea1e5
	s_mov_b32 s38, s34
	v_add_f64 v[37:38], v[88:89], v[37:38]
	v_mul_f64 v[88:89], v[80:81], s[36:37]
	v_add_f64 v[5:6], v[13:14], v[5:6]
	v_add_f64 v[7:8], v[15:16], v[7:8]
	;; [unrolled: 1-line block ×4, first 2 shown]
	v_fma_f64 v[29:30], v[17:18], s[16:17], v[78:79]
	v_fma_f64 v[31:32], v[19:20], s[16:17], -v[84:85]
	v_mul_f64 v[78:79], v[80:81], s[38:39]
	v_mul_f64 v[84:85], v[82:83], s[38:39]
	v_add_f64 v[39:40], v[92:93], v[39:40]
	v_mul_f64 v[92:93], v[82:83], s[36:37]
	s_mov_b32 s37, 0x3fea55e2
	s_mov_b32 s36, s26
	v_add_f64 v[29:30], v[29:30], v[45:46]
	v_add_f64 v[31:32], v[31:32], v[47:48]
	v_fma_f64 v[45:46], v[17:18], s[30:31], -v[78:79]
	v_fma_f64 v[47:48], v[19:20], s[30:31], v[84:85]
	v_add_f64 v[86:87], v[98:99], v[86:87]
	v_fma_f64 v[33:34], v[17:18], s[0:1], -v[88:89]
	v_fma_f64 v[88:89], v[17:18], s[0:1], v[88:89]
	v_mul_f64 v[80:81], v[80:81], s[36:37]
	v_mul_f64 v[82:83], v[82:83], s[36:37]
	v_fma_f64 v[35:36], v[19:20], s[0:1], v[92:93]
	v_add_f64 v[45:46], v[45:46], v[49:50]
	v_add_f64 v[47:48], v[47:48], v[72:73]
	v_add_f64 v[49:50], v[66:67], -v[70:71]
	v_add_f64 v[72:73], v[64:65], -v[68:69]
	v_fma_f64 v[92:93], v[19:20], s[0:1], -v[92:93]
	v_add_f64 v[33:34], v[33:34], v[86:87]
	v_add_f64 v[25:26], v[88:89], v[25:26]
	v_fma_f64 v[78:79], v[17:18], s[30:31], v[78:79]
	v_fma_f64 v[84:85], v[19:20], s[30:31], -v[84:85]
	v_fma_f64 v[86:87], v[17:18], s[2:3], -v[80:81]
	v_fma_f64 v[88:89], v[19:20], s[2:3], v[82:83]
	v_add_f64 v[64:65], v[64:65], v[68:69]
	v_add_f64 v[66:67], v[66:67], v[70:71]
	v_mul_f64 v[68:69], v[49:50], s[24:25]
	v_mul_f64 v[70:71], v[72:73], s[24:25]
	v_fma_f64 v[17:18], v[17:18], s[2:3], v[80:81]
	v_fma_f64 v[19:20], v[19:20], s[2:3], -v[82:83]
	v_add_f64 v[41:42], v[78:79], v[41:42]
	v_add_f64 v[43:44], v[84:85], v[43:44]
	;; [unrolled: 1-line block ×4, first 2 shown]
	v_fma_f64 v[78:79], v[64:65], s[22:23], -v[68:69]
	v_fma_f64 v[80:81], v[66:67], s[22:23], v[70:71]
	v_add_f64 v[1:2], v[17:18], v[1:2]
	v_add_f64 v[3:4], v[19:20], v[3:4]
	v_mul_f64 v[17:18], v[49:50], s[28:29]
	v_mul_f64 v[19:20], v[72:73], s[28:29]
	v_fma_f64 v[68:69], v[64:65], s[22:23], v[68:69]
	v_fma_f64 v[70:71], v[66:67], s[22:23], -v[70:71]
	v_add_f64 v[9:10], v[78:79], v[9:10]
	v_add_f64 v[11:12], v[80:81], v[11:12]
	v_mul_f64 v[78:79], v[49:50], s[26:27]
	v_mul_f64 v[80:81], v[72:73], s[26:27]
	v_fma_f64 v[82:83], v[64:65], s[0:1], -v[17:18]
	v_fma_f64 v[84:85], v[66:67], s[0:1], v[19:20]
	v_add_f64 v[21:22], v[68:69], v[21:22]
	v_add_f64 v[23:24], v[70:71], v[23:24]
	v_fma_f64 v[17:18], v[64:65], s[0:1], v[17:18]
	v_fma_f64 v[19:20], v[66:67], s[0:1], -v[19:20]
	v_fma_f64 v[68:69], v[64:65], s[2:3], -v[78:79]
	v_fma_f64 v[70:71], v[66:67], s[2:3], v[80:81]
	v_add_f64 v[37:38], v[82:83], v[37:38]
	v_add_f64 v[39:40], v[84:85], v[39:40]
	v_mul_f64 v[82:83], v[49:50], s[38:39]
	v_mul_f64 v[84:85], v[72:73], s[38:39]
	v_add_f64 v[35:36], v[35:36], v[90:91]
	v_add_f64 v[17:18], v[17:18], v[5:6]
	;; [unrolled: 1-line block ×5, first 2 shown]
	v_fma_f64 v[5:6], v[64:65], s[2:3], v[78:79]
	v_fma_f64 v[7:8], v[66:67], s[2:3], -v[80:81]
	v_fma_f64 v[68:69], v[64:65], s[30:31], -v[82:83]
	v_fma_f64 v[70:71], v[66:67], s[30:31], v[84:85]
	v_mul_f64 v[78:79], v[49:50], s[18:19]
	v_mul_f64 v[80:81], v[72:73], s[18:19]
	;; [unrolled: 1-line block ×4, first 2 shown]
	v_add_f64 v[29:30], v[5:6], v[29:30]
	v_add_f64 v[31:32], v[7:8], v[31:32]
	;; [unrolled: 1-line block ×4, first 2 shown]
	v_fma_f64 v[5:6], v[64:65], s[16:17], -v[78:79]
	v_fma_f64 v[7:8], v[66:67], s[16:17], v[80:81]
	v_fma_f64 v[68:69], v[64:65], s[16:17], v[78:79]
	v_fma_f64 v[70:71], v[66:67], s[16:17], -v[80:81]
	v_add_f64 v[78:79], v[58:59], -v[62:63]
	v_add_f64 v[80:81], v[56:57], -v[60:61]
	v_add_f64 v[76:77], v[88:89], v[76:77]
	v_add_f64 v[60:61], v[56:57], v[60:61]
	v_add_f64 v[45:46], v[5:6], v[45:46]
	v_add_f64 v[47:48], v[7:8], v[47:48]
	v_fma_f64 v[5:6], v[64:65], s[4:5], -v[49:50]
	v_fma_f64 v[7:8], v[66:67], s[4:5], v[72:73]
	v_add_f64 v[62:63], v[58:59], v[62:63]
	v_mul_f64 v[56:57], v[78:79], s[34:35]
	v_mul_f64 v[58:59], v[80:81], s[34:35]
	v_fma_f64 v[82:83], v[64:65], s[30:31], v[82:83]
	v_fma_f64 v[84:85], v[66:67], s[30:31], -v[84:85]
	v_add_f64 v[41:42], v[68:69], v[41:42]
	v_add_f64 v[43:44], v[70:71], v[43:44]
	v_fma_f64 v[49:50], v[64:65], s[4:5], v[49:50]
	v_fma_f64 v[64:65], v[66:67], s[4:5], -v[72:73]
	v_add_f64 v[66:67], v[5:6], v[74:75]
	v_add_f64 v[68:69], v[7:8], v[76:77]
	v_mul_f64 v[70:71], v[78:79], s[18:19]
	v_mul_f64 v[72:73], v[80:81], s[18:19]
	v_fma_f64 v[5:6], v[60:61], s[30:31], -v[56:57]
	v_fma_f64 v[7:8], v[62:63], s[30:31], v[58:59]
	v_fma_f64 v[56:57], v[60:61], s[30:31], v[56:57]
	v_fma_f64 v[58:59], v[62:63], s[30:31], -v[58:59]
	v_add_f64 v[49:50], v[49:50], v[1:2]
	v_add_f64 v[64:65], v[64:65], v[3:4]
	v_fma_f64 v[74:75], v[60:61], s[16:17], -v[70:71]
	v_fma_f64 v[76:77], v[62:63], s[16:17], v[72:73]
	v_add_f64 v[1:2], v[5:6], v[9:10]
	v_add_f64 v[3:4], v[7:8], v[11:12]
	v_mul_f64 v[9:10], v[78:79], s[24:25]
	v_mul_f64 v[11:12], v[80:81], s[24:25]
	v_add_f64 v[56:57], v[56:57], v[21:22]
	v_add_f64 v[58:59], v[58:59], v[23:24]
	v_fma_f64 v[21:22], v[60:61], s[16:17], v[70:71]
	v_fma_f64 v[23:24], v[62:63], s[16:17], -v[72:73]
	v_mul_f64 v[70:71], v[78:79], s[36:37]
	v_mul_f64 v[72:73], v[80:81], s[36:37]
	v_add_f64 v[27:28], v[92:93], v[27:28]
	v_add_f64 v[5:6], v[74:75], v[37:38]
	;; [unrolled: 1-line block ×3, first 2 shown]
	v_fma_f64 v[37:38], v[60:61], s[22:23], -v[9:10]
	v_fma_f64 v[39:40], v[62:63], s[22:23], v[11:12]
	v_fma_f64 v[74:75], v[60:61], s[22:23], v[9:10]
	v_fma_f64 v[76:77], v[62:63], s[22:23], -v[11:12]
	v_add_f64 v[9:10], v[21:22], v[17:18]
	v_add_f64 v[11:12], v[23:24], v[19:20]
	v_fma_f64 v[21:22], v[60:61], s[2:3], -v[70:71]
	v_fma_f64 v[23:24], v[62:63], s[2:3], v[72:73]
	v_add_f64 v[25:26], v[82:83], v[25:26]
	v_add_f64 v[27:28], v[84:85], v[27:28]
	;; [unrolled: 1-line block ×6, first 2 shown]
	v_fma_f64 v[29:30], v[60:61], s[2:3], v[70:71]
	v_fma_f64 v[31:32], v[62:63], s[2:3], -v[72:73]
	v_mul_f64 v[37:38], v[78:79], s[20:21]
	v_mul_f64 v[39:40], v[80:81], s[20:21]
	v_add_f64 v[21:22], v[21:22], v[33:34]
	v_add_f64 v[23:24], v[23:24], v[35:36]
	v_mul_f64 v[33:34], v[78:79], s[28:29]
	v_mul_f64 v[35:36], v[80:81], s[28:29]
	v_add_f64 v[25:26], v[29:30], v[25:26]
	v_add_f64 v[27:28], v[31:32], v[27:28]
	v_fma_f64 v[29:30], v[60:61], s[4:5], -v[37:38]
	v_fma_f64 v[31:32], v[62:63], s[4:5], v[39:40]
	v_fma_f64 v[37:38], v[60:61], s[4:5], v[37:38]
	v_fma_f64 v[39:40], v[62:63], s[4:5], -v[39:40]
	v_fma_f64 v[70:71], v[60:61], s[0:1], -v[33:34]
	v_fma_f64 v[72:73], v[62:63], s[0:1], v[35:36]
	v_fma_f64 v[60:61], v[60:61], s[0:1], v[33:34]
	v_fma_f64 v[62:63], v[62:63], s[0:1], -v[35:36]
	v_add_f64 v[29:30], v[29:30], v[45:46]
	v_add_f64 v[31:32], v[31:32], v[47:48]
	;; [unrolled: 1-line block ×6, first 2 shown]
	v_mul_lo_u16_e32 v45, 13, v114
	v_add_f64 v[41:42], v[60:61], v[49:50]
	v_add_f64 v[43:44], v[62:63], v[64:65]
	v_lshl_add_u32 v249, v45, 4, v119
	buffer_store_dword v119, off, s[64:67], 0 offset:4 ; 4-byte Folded Spill
	ds_write_b128 v249, v[52:55]
	ds_write_b128 v249, v[1:4] offset:16
	ds_write_b128 v249, v[5:8] offset:32
	;; [unrolled: 1-line block ×12, first 2 shown]
	s_waitcnt vmcnt(0) lgkmcnt(0)
	s_barrier
	ds_read_b128 v[64:67], v255
	ds_read_b128 v[68:71], v255 offset:1088
	ds_read_b128 v[132:135], v255 offset:7072
	;; [unrolled: 1-line block ×11, first 2 shown]
	v_cmp_gt_u16_e64 s[0:1], 17, v114
	buffer_store_dword v114, off, s[64:67], 0 ; 4-byte Folded Spill
	s_and_saveexec_b64 s[2:3], s[0:1]
	s_cbranch_execz .LBB0_3
; %bb.2:
	ds_read_b128 v[56:59], v255 offset:3264
	ds_read_b128 v[152:155], v255 offset:6800
	;; [unrolled: 1-line block ×4, first 2 shown]
.LBB0_3:
	s_or_b64 exec, exec, s[2:3]
	buffer_load_dword v7, off, s[64:67], 0  ; 4-byte Folded Reload
	s_movk_i32 s4, 0x4f
	s_waitcnt vmcnt(0)
	v_add_u16_e32 v3, 0x44, v7
	v_mul_lo_u16_sdwa v1, v7, s4 dst_sel:DWORD dst_unused:UNUSED_PAD src0_sel:BYTE_0 src1_sel:DWORD
	v_mul_lo_u16_sdwa v4, v3, s4 dst_sel:DWORD dst_unused:UNUSED_PAD src0_sel:BYTE_0 src1_sel:DWORD
	v_add_u16_e32 v5, 0xcc, v7
	v_lshrrev_b16_e32 v51, 10, v1
	v_lshrrev_b16_e32 v229, 10, v4
	v_mul_u32_u24_e32 v6, 0x4ec5, v5
	v_mul_lo_u16_e32 v1, 13, v51
	v_mul_lo_u16_e32 v4, 13, v229
	v_lshrrev_b32_e32 v6, 18, v6
	v_sub_u16_e32 v1, v7, v1
	v_sub_u16_e32 v3, v3, v4
	buffer_store_dword v6, off, s[64:67], 0 offset:216 ; 4-byte Folded Spill
	v_mul_lo_u16_e32 v6, 13, v6
	v_and_b32_e32 v228, 0xff, v1
	v_and_b32_e32 v230, 0xff, v3
	v_sub_u16_e32 v5, v5, v6
	v_mad_u64_u32 v[1:2], s[2:3], v228, 48, s[14:15]
	v_mad_u64_u32 v[3:4], s[2:3], v230, 48, s[14:15]
	buffer_store_dword v5, off, s[64:67], 0 offset:220 ; 4-byte Folded Spill
	v_mul_lo_u16_e32 v5, 48, v5
	v_mov_b32_e32 v6, s15
	v_add_co_u32_e64 v5, s[2:3], s14, v5
	v_addc_co_u32_e64 v6, s[2:3], 0, v6, s[2:3]
	global_load_dwordx4 v[52:55], v[5:6], off offset:32
	global_load_dwordx4 v[72:75], v[5:6], off offset:16
	;; [unrolled: 1-line block ×3, first 2 shown]
	global_load_dwordx4 v[96:99], v[1:2], off
	global_load_dwordx4 v[80:83], v[3:4], off offset:16
	global_load_dwordx4 v[76:79], v[5:6], off
	global_load_dwordx4 v[112:115], v[1:2], off offset:32
	global_load_dwordx4 v[100:103], v[3:4], off
	v_add_u16_e32 v1, 0x88, v7
	v_mul_lo_u16_sdwa v2, v1, s4 dst_sel:DWORD dst_unused:UNUSED_PAD src0_sel:BYTE_0 src1_sel:DWORD
	v_lshrrev_b16_e32 v231, 10, v2
	v_mul_lo_u16_e32 v2, 13, v231
	v_sub_u16_e32 v1, v1, v2
	v_and_b32_e32 v233, 0xff, v1
	v_mad_u64_u32 v[1:2], s[2:3], v233, 48, s[14:15]
	global_load_dwordx4 v[108:111], v[3:4], off offset:32
	global_load_dwordx4 v[104:107], v[1:2], off
	global_load_dwordx4 v[88:91], v[1:2], off offset:16
	global_load_dwordx4 v[84:87], v[1:2], off offset:32
	s_waitcnt vmcnt(11) lgkmcnt(0)
	v_mul_f64 v[5:6], v[162:163], v[54:55]
	v_mul_f64 v[7:8], v[160:161], v[54:55]
	s_waitcnt vmcnt(9)
	v_mul_f64 v[17:18], v[134:135], v[94:95]
	s_waitcnt vmcnt(8)
	;; [unrolled: 2-line block ×3, first 2 shown]
	v_mul_f64 v[29:30], v[118:119], v[82:83]
	v_mul_f64 v[31:32], v[116:117], v[82:83]
	;; [unrolled: 1-line block ×4, first 2 shown]
	v_fma_f64 v[5:6], v[160:161], v[52:53], -v[5:6]
	buffer_store_dword v52, off, s[64:67], 0 offset:224 ; 4-byte Folded Spill
	s_nop 0
	buffer_store_dword v53, off, s[64:67], 0 offset:228 ; 4-byte Folded Spill
	buffer_store_dword v54, off, s[64:67], 0 offset:232 ; 4-byte Folded Spill
	;; [unrolled: 1-line block ×3, first 2 shown]
	s_waitcnt vmcnt(0)
	s_barrier
	v_fma_f64 v[29:30], v[116:117], v[80:81], -v[29:30]
	buffer_load_dword v116, off, s[64:67], 0 offset:4 ; 4-byte Folded Reload
	v_mul_f64 v[21:22], v[150:151], v[114:115]
	v_mul_f64 v[23:24], v[148:149], v[114:115]
	;; [unrolled: 1-line block ×16, first 2 shown]
	v_fma_f64 v[13:14], v[144:145], v[96:97], -v[13:14]
	v_fma_f64 v[15:16], v[146:147], v[96:97], v[15:16]
	v_fma_f64 v[17:18], v[132:133], v[92:93], -v[17:18]
	v_fma_f64 v[19:20], v[134:135], v[92:93], v[19:20]
	;; [unrolled: 2-line block ×6, first 2 shown]
	v_fma_f64 v[31:32], v[118:119], v[80:81], v[31:32]
	v_fma_f64 v[33:34], v[140:141], v[108:109], -v[33:34]
	v_fma_f64 v[35:36], v[142:143], v[108:109], v[35:36]
	v_fma_f64 v[37:38], v[120:121], v[104:105], -v[37:38]
	;; [unrolled: 2-line block ×4, first 2 shown]
	v_fma_f64 v[47:48], v[130:131], v[84:85], v[47:48]
	v_add_f64 v[17:18], v[64:65], -v[17:18]
	v_add_f64 v[19:20], v[66:67], -v[19:20]
	;; [unrolled: 1-line block ×12, first 2 shown]
	v_fma_f64 v[49:50], v[64:65], 2.0, -v[17:18]
	v_fma_f64 v[64:65], v[66:67], 2.0, -v[19:20]
	;; [unrolled: 1-line block ×4, first 2 shown]
	v_add_f64 v[45:46], v[37:38], -v[45:46]
	v_add_f64 v[47:48], v[39:40], -v[47:48]
	;; [unrolled: 1-line block ×3, first 2 shown]
	v_add_f64 v[174:175], v[19:20], v[21:22]
	v_add_f64 v[5:6], v[9:10], -v[5:6]
	v_fma_f64 v[66:67], v[68:69], 2.0, -v[29:30]
	v_fma_f64 v[68:69], v[70:71], 2.0, -v[31:32]
	;; [unrolled: 1-line block ×4, first 2 shown]
	v_add_f64 v[168:169], v[49:50], -v[13:14]
	v_add_f64 v[170:171], v[64:65], -v[15:16]
	v_fma_f64 v[164:165], v[17:18], 2.0, -v[172:173]
	v_fma_f64 v[166:167], v[19:20], 2.0, -v[174:175]
	;; [unrolled: 1-line block ×7, first 2 shown]
	v_fma_f64 v[7:8], v[162:163], v[52:53], v[7:8]
	v_fma_f64 v[23:24], v[58:59], 2.0, -v[3:4]
	v_fma_f64 v[9:10], v[9:10], 2.0, -v[5:6]
	v_add_f64 v[184:185], v[66:67], -v[25:26]
	v_add_f64 v[186:187], v[68:69], -v[27:28]
	;; [unrolled: 1-line block ×3, first 2 shown]
	v_add_f64 v[190:191], v[31:32], v[33:34]
	v_add_f64 v[200:201], v[13:14], -v[17:18]
	v_add_f64 v[7:8], v[11:12], -v[7:8]
	v_add_f64 v[202:203], v[15:16], -v[19:20]
	v_add_f64 v[208:209], v[41:42], -v[47:48]
	v_add_f64 v[210:211], v[43:44], v[45:46]
	v_add_f64 v[212:213], v[21:22], -v[9:10]
	v_add_f64 v[226:227], v[3:4], v[5:6]
	v_fma_f64 v[180:181], v[49:50], 2.0, -v[168:169]
	v_fma_f64 v[182:183], v[64:65], 2.0, -v[170:171]
	;; [unrolled: 1-line block ×3, first 2 shown]
	v_add_f64 v[224:225], v[1:2], -v[7:8]
	v_fma_f64 v[176:177], v[66:67], 2.0, -v[184:185]
	v_fma_f64 v[178:179], v[68:69], 2.0, -v[186:187]
	;; [unrolled: 1-line block ×6, first 2 shown]
	v_add_f64 v[214:215], v[23:24], -v[11:12]
	v_fma_f64 v[204:205], v[41:42], 2.0, -v[208:209]
	v_fma_f64 v[206:207], v[43:44], 2.0, -v[210:211]
	v_fma_f64 v[216:217], v[21:22], 2.0, -v[212:213]
	v_fma_f64 v[220:221], v[1:2], 2.0, -v[224:225]
	v_fma_f64 v[222:223], v[3:4], 2.0, -v[226:227]
	v_mul_u32_u24_e32 v1, 52, v51
	v_add_u32_e32 v1, v1, v228
	v_fma_f64 v[218:219], v[23:24], 2.0, -v[214:215]
	s_waitcnt vmcnt(0)
	v_lshl_add_u32 v117, v1, 4, v116
	v_mul_u32_u24_e32 v1, 52, v229
	v_add_u32_e32 v1, v1, v230
	v_lshl_add_u32 v118, v1, 4, v116
	v_mul_u32_u24_e32 v1, 52, v231
	v_add_u32_e32 v1, v1, v233
	v_lshl_add_u32 v119, v1, 4, v116
	ds_write_b128 v117, v[180:183]
	ds_write_b128 v117, v[164:167] offset:208
	ds_write_b128 v117, v[168:171] offset:416
	ds_write_b128 v117, v[172:175] offset:624
	ds_write_b128 v118, v[176:179]
	ds_write_b128 v118, v[192:195] offset:208
	ds_write_b128 v118, v[184:187] offset:416
	ds_write_b128 v118, v[188:191] offset:624
	;; [unrolled: 4-line block ×3, first 2 shown]
	s_and_saveexec_b64 s[2:3], s[0:1]
	s_cbranch_execz .LBB0_5
; %bb.4:
	buffer_load_dword v1, off, s[64:67], 0 offset:216 ; 4-byte Folded Reload
	buffer_load_dword v2, off, s[64:67], 0 offset:220 ; 4-byte Folded Reload
	s_waitcnt vmcnt(0)
	v_mad_legacy_u16 v1, v1, 52, v2
	v_lshl_add_u32 v1, v1, 4, v116
	ds_write_b128 v1, v[216:219]
	ds_write_b128 v1, v[220:223] offset:208
	ds_write_b128 v1, v[212:215] offset:416
	;; [unrolled: 1-line block ×3, first 2 shown]
.LBB0_5:
	s_or_b64 exec, exec, s[2:3]
	s_waitcnt lgkmcnt(0)
	s_barrier
	buffer_load_dword v1, off, s[64:67], 0  ; 4-byte Folded Reload
                                        ; implicit-def: $vgpr228_vgpr229
	s_waitcnt vmcnt(0)
	v_cmp_gt_u16_e64 s[2:3], 52, v1
	s_and_saveexec_b64 s[4:5], s[2:3]
	s_cbranch_execz .LBB0_7
; %bb.6:
	ds_read_b128 v[180:183], v255
	ds_read_b128 v[164:167], v255 offset:832
	ds_read_b128 v[168:171], v255 offset:1664
	;; [unrolled: 1-line block ×16, first 2 shown]
.LBB0_7:
	s_or_b64 exec, exec, s[4:5]
	s_movk_i32 s4, 0xfcc0
	v_add_co_u32_e64 v2, s[4:5], s4, v0
	v_addc_co_u32_e64 v1, s[4:5], 0, -1, s[4:5]
	v_cndmask_b32_e64 v1, v1, 0, s[2:3]
	v_cndmask_b32_e64 v0, v2, v0, s[2:3]
	v_lshlrev_b64 v[0:1], 4, v[0:1]
	v_mov_b32_e32 v2, s15
	v_add_co_u32_e64 v0, s[4:5], s14, v0
	v_addc_co_u32_e64 v1, s[4:5], v2, v1, s[4:5]
	global_load_dwordx4 v[124:127], v[0:1], off offset:624
	global_load_dwordx4 v[120:123], v[0:1], off offset:640
	;; [unrolled: 1-line block ×16, first 2 shown]
	s_mov_b32 s20, 0x5d8e7cdc
	s_mov_b32 s28, 0x2a9d6da3
	;; [unrolled: 1-line block ×46, first 2 shown]
	s_waitcnt vmcnt(15) lgkmcnt(14)
	v_mul_f64 v[0:1], v[166:167], v[126:127]
	s_waitcnt vmcnt(14)
	v_mul_f64 v[4:5], v[170:171], v[122:123]
	s_waitcnt vmcnt(13) lgkmcnt(13)
	v_mul_f64 v[8:9], v[174:175], v[247:248]
	v_mul_f64 v[6:7], v[168:169], v[122:123]
	;; [unrolled: 1-line block ×4, first 2 shown]
	s_waitcnt vmcnt(9) lgkmcnt(9)
	v_mul_f64 v[24:25], v[190:191], v[162:163]
	s_waitcnt vmcnt(8) lgkmcnt(8)
	v_mul_f64 v[28:29], v[198:199], v[239:240]
	;; [unrolled: 2-line block ×5, first 2 shown]
	v_mul_f64 v[30:31], v[196:197], v[239:240]
	v_fma_f64 v[251:252], v[168:169], v[120:121], -v[4:5]
	v_fma_f64 v[140:141], v[172:173], v[245:246], -v[8:9]
	buffer_store_dword v245, off, s[64:67], 0 offset:520 ; 4-byte Folded Spill
	s_nop 0
	buffer_store_dword v246, off, s[64:67], 0 offset:524 ; 4-byte Folded Spill
	buffer_store_dword v247, off, s[64:67], 0 offset:528 ; 4-byte Folded Spill
	;; [unrolled: 1-line block ×3, first 2 shown]
	v_fma_f64 v[168:169], v[196:197], v[237:238], -v[28:29]
	buffer_store_dword v237, off, s[64:67], 0 offset:304 ; 4-byte Folded Spill
	s_nop 0
	buffer_store_dword v238, off, s[64:67], 0 offset:308 ; 4-byte Folded Spill
	buffer_store_dword v239, off, s[64:67], 0 offset:312 ; 4-byte Folded Spill
	;; [unrolled: 1-line block ×3, first 2 shown]
	v_mul_f64 v[34:35], v[204:205], v[243:244]
	v_mul_f64 v[38:39], v[200:201], v[235:236]
	v_mul_f64 v[42:43], v[208:209], v[54:55]
	v_fma_f64 v[0:1], v[164:165], v[124:125], -v[0:1]
	v_fma_f64 v[172:173], v[188:189], v[160:161], -v[24:25]
	;; [unrolled: 1-line block ×3, first 2 shown]
	buffer_store_dword v241, off, s[64:67], 0 offset:320 ; 4-byte Folded Spill
	s_nop 0
	buffer_store_dword v242, off, s[64:67], 0 offset:324 ; 4-byte Folded Spill
	buffer_store_dword v243, off, s[64:67], 0 offset:328 ; 4-byte Folded Spill
	;; [unrolled: 1-line block ×3, first 2 shown]
	v_fma_f64 v[36:37], v[200:201], v[233:234], -v[36:37]
	buffer_store_dword v233, off, s[64:67], 0 offset:288 ; 4-byte Folded Spill
	s_nop 0
	buffer_store_dword v234, off, s[64:67], 0 offset:292 ; 4-byte Folded Spill
	buffer_store_dword v235, off, s[64:67], 0 offset:296 ; 4-byte Folded Spill
	;; [unrolled: 1-line block ×3, first 2 shown]
	v_fma_f64 v[24:25], v[208:209], v[52:53], -v[40:41]
	buffer_store_dword v52, off, s[64:67], 0 offset:272 ; 4-byte Folded Spill
	s_nop 0
	buffer_store_dword v53, off, s[64:67], 0 offset:276 ; 4-byte Folded Spill
	buffer_store_dword v54, off, s[64:67], 0 offset:280 ; 4-byte Folded Spill
	;; [unrolled: 1-line block ×3, first 2 shown]
	s_waitcnt vmcnt(20) lgkmcnt(0)
	v_mul_f64 v[64:65], v[230:231], v[150:151]
	v_mul_f64 v[66:67], v[228:229], v[150:151]
	;; [unrolled: 1-line block ×4, first 2 shown]
	v_fma_f64 v[2:3], v[166:167], v[124:125], v[2:3]
	v_fma_f64 v[253:254], v[170:171], v[120:121], v[6:7]
	v_mul_f64 v[62:63], v[224:225], v[130:131]
	v_mul_f64 v[26:27], v[188:189], v[162:163]
	;; [unrolled: 1-line block ×3, first 2 shown]
	v_fma_f64 v[204:205], v[230:231], v[148:149], v[66:67]
	v_mul_f64 v[50:51], v[220:221], v[158:159]
	v_mul_f64 v[56:57], v[214:215], v[70:71]
	;; [unrolled: 1-line block ×6, first 2 shown]
	v_fma_f64 v[200:201], v[220:221], v[156:157], -v[48:49]
	v_add_f64 v[28:29], v[2:3], -v[204:205]
	v_mul_f64 v[16:17], v[194:195], v[138:139]
	v_mul_f64 v[22:23], v[184:185], v[146:147]
	;; [unrolled: 1-line block ×4, first 2 shown]
	v_fma_f64 v[247:248], v[178:179], v[132:133], v[14:15]
	v_mul_f64 v[4:5], v[28:29], s[28:29]
	v_fma_f64 v[192:193], v[192:193], v[136:137], -v[16:17]
	v_fma_f64 v[178:179], v[186:187], v[144:145], v[22:23]
	v_fma_f64 v[194:195], v[194:195], v[136:137], v[18:19]
	;; [unrolled: 1-line block ×6, first 2 shown]
	v_fma_f64 v[198:199], v[228:229], v[148:149], -v[64:65]
	v_fma_f64 v[245:246], v[176:177], v[132:133], -v[12:13]
	;; [unrolled: 1-line block ×3, first 2 shown]
	v_fma_f64 v[166:167], v[206:207], v[241:242], v[34:35]
	v_fma_f64 v[206:207], v[216:217], v[152:153], -v[44:45]
	v_add_f64 v[44:45], v[0:1], -v[198:199]
	v_fma_f64 v[64:65], v[202:203], v[233:234], v[38:39]
	v_fma_f64 v[34:35], v[210:211], v[52:53], v[42:43]
	v_fma_f64 v[52:53], v[224:225], v[128:129], -v[60:61]
	buffer_store_dword v128, off, s[64:67], 0 offset:256 ; 4-byte Folded Spill
	s_nop 0
	buffer_store_dword v129, off, s[64:67], 0 offset:260 ; 4-byte Folded Spill
	buffer_store_dword v130, off, s[64:67], 0 offset:264 ; 4-byte Folded Spill
	;; [unrolled: 1-line block ×4, first 2 shown]
	s_nop 0
	buffer_store_dword v1, off, s[64:67], 0 offset:564 ; 4-byte Folded Spill
	buffer_store_dword v2, off, s[64:67], 0 offset:568 ; 4-byte Folded Spill
	s_nop 0
	buffer_store_dword v3, off, s[64:67], 0 offset:572 ; 4-byte Folded Spill
	v_fma_f64 v[202:203], v[222:223], v[156:157], v[50:51]
	v_mul_f64 v[6:7], v[44:45], s[28:29]
	v_add_f64 v[184:185], v[245:246], -v[200:201]
	v_add_f64 v[216:217], v[172:173], -v[36:37]
	;; [unrolled: 1-line block ×5, first 2 shown]
	v_mul_f64 v[16:17], v[184:185], s[40:41]
	v_mul_f64 v[243:244], v[216:217], s[40:41]
	;; [unrolled: 1-line block ×5, first 2 shown]
	v_fma_f64 v[54:55], v[226:227], v[128:129], v[62:63]
	v_fma_f64 v[128:129], v[212:213], v[68:69], -v[56:57]
	buffer_store_dword v68, off, s[64:67], 0 offset:240 ; 4-byte Folded Spill
	s_nop 0
	buffer_store_dword v69, off, s[64:67], 0 offset:244 ; 4-byte Folded Spill
	buffer_store_dword v70, off, s[64:67], 0 offset:248 ; 4-byte Folded Spill
	;; [unrolled: 1-line block ×3, first 2 shown]
	v_add_f64 v[26:27], v[0:1], v[198:199]
	v_add_f64 v[220:221], v[2:3], v[204:205]
	v_mul_f64 v[0:1], v[28:29], s[20:21]
	v_mul_f64 v[2:3], v[44:45], s[20:21]
	buffer_store_dword v0, off, s[64:67], 0 offset:424 ; 4-byte Folded Spill
	s_nop 0
	buffer_store_dword v1, off, s[64:67], 0 offset:428 ; 4-byte Folded Spill
	v_add_f64 v[224:225], v[253:254], -v[54:55]
	buffer_store_dword v2, off, s[64:67], 0 offset:448 ; 4-byte Folded Spill
	s_nop 0
	buffer_store_dword v3, off, s[64:67], 0 offset:452 ; 4-byte Folded Spill
	buffer_store_dword v4, off, s[64:67], 0 offset:432 ; 4-byte Folded Spill
	s_nop 0
	buffer_store_dword v5, off, s[64:67], 0 offset:436 ; 4-byte Folded Spill
	;; [unrolled: 3-line block ×5, first 2 shown]
	v_mul_f64 v[8:9], v[224:225], s[28:29]
	buffer_store_dword v8, off, s[64:67], 0 offset:456 ; 4-byte Folded Spill
	s_nop 0
	buffer_store_dword v9, off, s[64:67], 0 offset:460 ; 4-byte Folded Spill
	buffer_store_dword v10, off, s[64:67], 0 offset:464 ; 4-byte Folded Spill
	s_nop 0
	buffer_store_dword v11, off, s[64:67], 0 offset:468 ; 4-byte Folded Spill
	v_mul_f64 v[12:13], v[224:225], s[40:41]
	buffer_store_dword v12, off, s[64:67], 0 offset:552 ; 4-byte Folded Spill
	s_nop 0
	buffer_store_dword v13, off, s[64:67], 0 offset:556 ; 4-byte Folded Spill
	buffer_store_dword v14, off, s[64:67], 0 offset:592 ; 4-byte Folded Spill
	s_nop 0
	buffer_store_dword v15, off, s[64:67], 0 offset:596 ; 4-byte Folded Spill
	v_fma_f64 v[130:131], v[214:215], v[68:69], v[58:59]
	v_fma_f64 v[0:1], v[26:27], s[4:5], v[0:1]
	v_fma_f64 v[2:3], v[220:221], s[4:5], -v[2:3]
	v_fma_f64 v[4:5], v[26:27], s[16:17], v[4:5]
	v_fma_f64 v[6:7], v[220:221], s[16:17], -v[6:7]
	v_add_f64 v[226:227], v[251:252], v[52:53]
	v_add_f64 v[222:223], v[253:254], v[54:55]
	v_add_f64 v[251:252], v[140:141], -v[128:129]
	v_add_f64 v[0:1], v[180:181], v[0:1]
	v_add_f64 v[253:254], v[142:143], -v[130:131]
	v_add_f64 v[2:3], v[182:183], v[2:3]
	buffer_store_dword v140, off, s[64:67], 0 offset:512 ; 4-byte Folded Spill
	s_nop 0
	buffer_store_dword v141, off, s[64:67], 0 offset:516 ; 4-byte Folded Spill
	buffer_store_dword v142, off, s[64:67], 0 offset:792 ; 4-byte Folded Spill
	s_nop 0
	buffer_store_dword v143, off, s[64:67], 0 offset:796 ; 4-byte Folded Spill
	v_add_f64 v[6:7], v[182:183], v[6:7]
	v_add_f64 v[4:5], v[180:181], v[4:5]
	v_mul_f64 v[188:189], v[251:252], s[58:59]
	v_fma_f64 v[56:57], v[222:223], s[38:39], -v[66:67]
	v_fma_f64 v[8:9], v[226:227], s[16:17], v[8:9]
	v_fma_f64 v[10:11], v[222:223], s[16:17], -v[10:11]
	v_mul_f64 v[186:187], v[253:254], s[22:23]
	v_mul_f64 v[46:47], v[253:254], s[26:27]
	;; [unrolled: 1-line block ×3, first 2 shown]
	v_add_f64 v[8:9], v[8:9], v[0:1]
	v_add_f64 v[2:3], v[10:11], v[2:3]
	v_mul_f64 v[10:11], v[251:252], s[22:23]
	v_fma_f64 v[14:15], v[222:223], s[18:19], -v[14:15]
	v_add_f64 v[0:1], v[247:248], -v[202:203]
	buffer_store_dword v10, off, s[64:67], 0 offset:584 ; 4-byte Folded Spill
	s_nop 0
	buffer_store_dword v11, off, s[64:67], 0 offset:588 ; 4-byte Folded Spill
	v_add_f64 v[6:7], v[14:15], v[6:7]
	buffer_store_dword v245, off, s[64:67], 0 offset:496 ; 4-byte Folded Spill
	s_nop 0
	buffer_store_dword v246, off, s[64:67], 0 offset:500 ; 4-byte Folded Spill
	v_mul_f64 v[14:15], v[0:1], s[40:41]
	buffer_store_dword v247, off, s[64:67], 0 offset:504 ; 4-byte Folded Spill
	s_nop 0
	buffer_store_dword v248, off, s[64:67], 0 offset:508 ; 4-byte Folded Spill
	buffer_store_dword v14, off, s[64:67], 0 offset:600 ; 4-byte Folded Spill
	s_nop 0
	buffer_store_dword v15, off, s[64:67], 0 offset:604 ; 4-byte Folded Spill
	;; [unrolled: 3-line block ×3, first 2 shown]
	v_fma_f64 v[12:13], v[226:227], s[18:19], v[12:13]
	v_mul_f64 v[50:51], v[0:1], s[46:47]
	v_add_f64 v[12:13], v[12:13], v[4:5]
	v_add_f64 v[40:41], v[140:141], v[128:129]
	;; [unrolled: 1-line block ×3, first 2 shown]
	v_mul_f64 v[140:141], v[251:252], s[26:27]
	v_fma_f64 v[4:5], v[40:41], s[14:15], v[186:187]
	v_add_f64 v[8:9], v[4:5], v[8:9]
	v_add_f64 v[4:5], v[192:193], -v[206:207]
	buffer_store_dword v192, off, s[64:67], 0 offset:480 ; 4-byte Folded Spill
	s_nop 0
	buffer_store_dword v193, off, s[64:67], 0 offset:484 ; 4-byte Folded Spill
	v_fma_f64 v[10:11], v[42:43], s[14:15], -v[10:11]
	v_mul_f64 v[22:23], v[4:5], s[42:43]
	v_add_f64 v[30:31], v[245:246], v[200:201]
	v_mul_f64 v[190:191], v[4:5], s[52:53]
	v_add_f64 v[32:33], v[247:248], v[202:203]
	v_mul_f64 v[245:246], v[253:254], s[46:47]
	v_mul_f64 v[247:248], v[184:185], s[54:55]
	v_add_f64 v[10:11], v[10:11], v[2:3]
	v_add_f64 v[2:3], v[194:195], -v[18:19]
	buffer_store_dword v18, off, s[64:67], 0 offset:336 ; 4-byte Folded Spill
	s_nop 0
	buffer_store_dword v19, off, s[64:67], 0 offset:340 ; 4-byte Folded Spill
	buffer_store_dword v194, off, s[64:67], 0 offset:488 ; 4-byte Folded Spill
	s_nop 0
	buffer_store_dword v195, off, s[64:67], 0 offset:492 ; 4-byte Folded Spill
	v_fma_f64 v[14:15], v[30:31], s[18:19], v[14:15]
	v_fma_f64 v[16:17], v[32:33], s[18:19], -v[16:17]
	v_mul_f64 v[20:21], v[2:3], s[42:43]
	buffer_store_dword v20, off, s[64:67], 0 offset:616 ; 4-byte Folded Spill
	s_nop 0
	buffer_store_dword v21, off, s[64:67], 0 offset:620 ; 4-byte Folded Spill
	v_add_f64 v[14:15], v[14:15], v[8:9]
	v_add_f64 v[16:17], v[16:17], v[10:11]
	v_add_f64 v[10:11], v[178:179], -v[34:35]
	v_add_f64 v[8:9], v[176:177], -v[24:25]
	buffer_store_dword v22, off, s[64:67], 0 offset:624 ; 4-byte Folded Spill
	s_nop 0
	buffer_store_dword v23, off, s[64:67], 0 offset:628 ; 4-byte Folded Spill
	buffer_store_dword v46, off, s[64:67], 0 offset:632 ; 4-byte Folded Spill
	s_nop 0
	buffer_store_dword v47, off, s[64:67], 0 offset:636 ; 4-byte Folded Spill
	;; [unrolled: 3-line block ×6, first 2 shown]
	v_mul_f64 v[208:209], v[2:3], s[52:53]
	v_mul_f64 v[239:240], v[8:9], s[20:21]
	;; [unrolled: 1-line block ×3, first 2 shown]
	v_add_f64 v[38:39], v[192:193], v[206:207]
	v_mul_f64 v[192:193], v[251:252], s[46:47]
	v_add_f64 v[228:229], v[194:195], v[18:19]
	v_mul_f64 v[194:195], v[4:5], s[22:23]
	v_fma_f64 v[18:19], v[38:39], s[30:31], v[20:21]
	v_fma_f64 v[20:21], v[228:229], s[30:31], -v[22:23]
	v_fma_f64 v[22:23], v[40:41], s[24:25], v[46:47]
	v_add_f64 v[230:231], v[176:177], v[24:25]
	v_add_f64 v[212:213], v[178:179], v[34:35]
	v_mul_f64 v[24:25], v[10:11], s[26:27]
	v_mul_f64 v[34:35], v[8:9], s[26:27]
	buffer_store_dword v24, off, s[64:67], 0 offset:640 ; 4-byte Folded Spill
	s_nop 0
	buffer_store_dword v25, off, s[64:67], 0 offset:644 ; 4-byte Folded Spill
	buffer_store_dword v34, off, s[64:67], 0 offset:648 ; 4-byte Folded Spill
	s_nop 0
	buffer_store_dword v35, off, s[64:67], 0 offset:652 ; 4-byte Folded Spill
	v_add_f64 v[18:19], v[18:19], v[14:15]
	v_add_f64 v[14:15], v[174:175], -v[64:65]
	v_add_f64 v[16:17], v[20:21], v[16:17]
	buffer_store_dword v36, off, s[64:67], 0 offset:360 ; 4-byte Folded Spill
	s_nop 0
	buffer_store_dword v37, off, s[64:67], 0 offset:364 ; 4-byte Folded Spill
	buffer_store_dword v172, off, s[64:67], 0 offset:408 ; 4-byte Folded Spill
	s_nop 0
	buffer_store_dword v173, off, s[64:67], 0 offset:412 ; 4-byte Folded Spill
	;; [unrolled: 3-line block ×4, first 2 shown]
	v_add_f64 v[12:13], v[22:23], v[12:13]
	v_mul_f64 v[46:47], v[224:225], s[26:27]
	v_fma_f64 v[20:21], v[230:231], s[24:25], v[24:25]
	v_fma_f64 v[24:25], v[212:213], s[24:25], -v[34:35]
	v_mul_f64 v[34:35], v[14:15], s[50:51]
	buffer_store_dword v34, off, s[64:67], 0 offset:656 ; 4-byte Folded Spill
	s_nop 0
	buffer_store_dword v35, off, s[64:67], 0 offset:660 ; 4-byte Folded Spill
	v_add_f64 v[218:219], v[172:173], v[36:37]
	v_mul_f64 v[36:37], v[216:217], s[50:51]
	v_add_f64 v[18:19], v[20:21], v[18:19]
	buffer_store_dword v36, off, s[64:67], 0 offset:664 ; 4-byte Folded Spill
	s_nop 0
	buffer_store_dword v37, off, s[64:67], 0 offset:668 ; 4-byte Folded Spill
	buffer_store_dword v164, off, s[64:67], 0 offset:376 ; 4-byte Folded Spill
	s_nop 0
	buffer_store_dword v165, off, s[64:67], 0 offset:380 ; 4-byte Folded Spill
	;; [unrolled: 3-line block ×5, first 2 shown]
	v_add_f64 v[214:215], v[174:175], v[64:65]
	v_add_f64 v[16:17], v[24:25], v[16:17]
	v_mul_f64 v[64:65], v[44:45], s[40:41]
	v_fma_f64 v[20:21], v[218:219], s[36:37], v[34:35]
	v_mul_f64 v[34:35], v[237:238], s[44:45]
	buffer_store_dword v34, off, s[64:67], 0 offset:672 ; 4-byte Folded Spill
	s_nop 0
	buffer_store_dword v35, off, s[64:67], 0 offset:676 ; 4-byte Folded Spill
	v_fma_f64 v[24:25], v[214:215], s[36:37], -v[36:37]
	v_add_f64 v[233:234], v[168:169], v[164:165]
	v_mul_f64 v[36:37], v[241:242], s[44:45]
	v_add_f64 v[18:19], v[20:21], v[18:19]
	buffer_store_dword v36, off, s[64:67], 0 offset:680 ; 4-byte Folded Spill
	s_nop 0
	buffer_store_dword v37, off, s[64:67], 0 offset:684 ; 4-byte Folded Spill
	v_add_f64 v[235:236], v[170:171], v[166:167]
	v_add_f64 v[16:17], v[24:25], v[16:17]
	v_fma_f64 v[20:21], v[233:234], s[38:39], v[34:35]
	v_add_f64 v[164:165], v[20:21], v[18:19]
	v_mul_f64 v[18:19], v[0:1], s[44:45]
	buffer_store_dword v18, off, s[64:67], 0 offset:712 ; 4-byte Folded Spill
	s_nop 0
	buffer_store_dword v19, off, s[64:67], 0 offset:716 ; 4-byte Folded Spill
	v_fma_f64 v[22:23], v[235:236], s[38:39], -v[36:37]
	v_add_f64 v[166:167], v[22:23], v[16:17]
	v_fma_f64 v[16:17], v[42:43], s[24:25], -v[140:141]
	v_add_f64 v[6:7], v[16:17], v[6:7]
	v_fma_f64 v[16:17], v[30:31], s[38:39], v[18:19]
	v_add_f64 v[12:13], v[16:17], v[12:13]
	v_mul_f64 v[16:17], v[184:185], s[44:45]
	buffer_store_dword v16, off, s[64:67], 0 offset:776 ; 4-byte Folded Spill
	s_nop 0
	buffer_store_dword v17, off, s[64:67], 0 offset:780 ; 4-byte Folded Spill
	v_fma_f64 v[16:17], v[32:33], s[38:39], -v[16:17]
	v_add_f64 v[6:7], v[16:17], v[6:7]
	v_mul_f64 v[16:17], v[2:3], s[48:49]
	buffer_store_dword v16, off, s[64:67], 0 offset:720 ; 4-byte Folded Spill
	s_nop 0
	buffer_store_dword v17, off, s[64:67], 0 offset:724 ; 4-byte Folded Spill
	v_fma_f64 v[16:17], v[38:39], s[36:37], v[16:17]
	v_add_f64 v[12:13], v[16:17], v[12:13]
	v_mul_f64 v[16:17], v[4:5], s[48:49]
	buffer_store_dword v16, off, s[64:67], 0 offset:744 ; 4-byte Folded Spill
	s_nop 0
	buffer_store_dword v17, off, s[64:67], 0 offset:748 ; 4-byte Folded Spill
	v_fma_f64 v[16:17], v[228:229], s[36:37], -v[16:17]
	v_add_f64 v[16:17], v[16:17], v[6:7]
	v_mul_f64 v[6:7], v[10:11], s[46:47]
	buffer_store_dword v6, off, s[64:67], 0 offset:688 ; 4-byte Folded Spill
	s_nop 0
	buffer_store_dword v7, off, s[64:67], 0 offset:692 ; 4-byte Folded Spill
	v_fma_f64 v[6:7], v[230:231], s[30:31], v[6:7]
	v_add_f64 v[12:13], v[6:7], v[12:13]
	v_mul_f64 v[6:7], v[8:9], s[46:47]
	v_fma_f64 v[18:19], v[212:213], s[30:31], -v[6:7]
	v_add_f64 v[16:17], v[18:19], v[16:17]
	v_mul_f64 v[18:19], v[14:15], s[56:57]
	buffer_store_dword v18, off, s[64:67], 0 offset:696 ; 4-byte Folded Spill
	s_nop 0
	buffer_store_dword v19, off, s[64:67], 0 offset:700 ; 4-byte Folded Spill
	v_fma_f64 v[18:19], v[218:219], s[14:15], v[18:19]
	v_add_f64 v[12:13], v[18:19], v[12:13]
	v_mul_f64 v[18:19], v[216:217], s[56:57]
	buffer_store_dword v18, off, s[64:67], 0 offset:728 ; 4-byte Folded Spill
	s_nop 0
	buffer_store_dword v19, off, s[64:67], 0 offset:732 ; 4-byte Folded Spill
	v_fma_f64 v[18:19], v[214:215], s[14:15], -v[18:19]
	v_add_f64 v[16:17], v[18:19], v[16:17]
	v_mul_f64 v[18:19], v[237:238], s[54:55]
	buffer_store_dword v18, off, s[64:67], 0 offset:704 ; 4-byte Folded Spill
	s_nop 0
	buffer_store_dword v19, off, s[64:67], 0 offset:708 ; 4-byte Folded Spill
	v_fma_f64 v[18:19], v[233:234], s[4:5], v[18:19]
	v_add_f64 v[168:169], v[18:19], v[12:13]
	v_mul_f64 v[12:13], v[241:242], s[54:55]
	buffer_store_dword v12, off, s[64:67], 0 offset:736 ; 4-byte Folded Spill
	s_nop 0
	buffer_store_dword v13, off, s[64:67], 0 offset:740 ; 4-byte Folded Spill
	v_fma_f64 v[18:19], v[226:227], s[24:25], v[46:47]
	v_fma_f64 v[12:13], v[235:236], s[4:5], -v[12:13]
	v_add_f64 v[170:171], v[12:13], v[16:17]
	v_mul_f64 v[12:13], v[28:29], s[22:23]
	v_fma_f64 v[16:17], v[26:27], s[14:15], v[12:13]
	v_add_f64 v[16:17], v[180:181], v[16:17]
	v_add_f64 v[20:21], v[18:19], v[16:17]
	v_mul_f64 v[16:17], v[44:45], s[22:23]
	v_fma_f64 v[18:19], v[220:221], s[14:15], -v[16:17]
	v_add_f64 v[22:23], v[182:183], v[18:19]
	v_mul_f64 v[18:19], v[48:49], s[26:27]
	v_fma_f64 v[24:25], v[222:223], s[24:25], -v[18:19]
	v_add_f64 v[22:23], v[24:25], v[22:23]
	v_fma_f64 v[24:25], v[40:41], s[38:39], v[210:211]
	v_add_f64 v[20:21], v[24:25], v[20:21]
	v_fma_f64 v[24:25], v[42:43], s[38:39], -v[188:189]
	v_add_f64 v[22:23], v[24:25], v[22:23]
	v_fma_f64 v[24:25], v[30:31], s[30:31], v[50:51]
	v_add_f64 v[24:25], v[24:25], v[20:21]
	v_mul_f64 v[20:21], v[184:185], s[46:47]
	v_fma_f64 v[34:35], v[32:33], s[30:31], -v[20:21]
	v_add_f64 v[22:23], v[34:35], v[22:23]
	v_fma_f64 v[34:35], v[38:39], s[16:17], v[208:209]
	v_add_f64 v[24:25], v[34:35], v[24:25]
	v_fma_f64 v[34:35], v[228:229], s[16:17], -v[190:191]
	v_add_f64 v[22:23], v[34:35], v[22:23]
	v_mul_f64 v[34:35], v[10:11], s[20:21]
	buffer_store_dword v34, off, s[64:67], 0 offset:760 ; 4-byte Folded Spill
	s_nop 0
	buffer_store_dword v35, off, s[64:67], 0 offset:764 ; 4-byte Folded Spill
	v_fma_f64 v[34:35], v[230:231], s[4:5], v[34:35]
	v_add_f64 v[24:25], v[34:35], v[24:25]
	v_fma_f64 v[34:35], v[212:213], s[4:5], -v[239:240]
	v_add_f64 v[22:23], v[34:35], v[22:23]
	v_mul_f64 v[34:35], v[14:15], s[40:41]
	buffer_store_dword v34, off, s[64:67], 0 offset:752 ; 4-byte Folded Spill
	s_nop 0
	buffer_store_dword v35, off, s[64:67], 0 offset:756 ; 4-byte Folded Spill
	;; [unrolled: 8-line block ×3, first 2 shown]
	v_fma_f64 v[34:35], v[233:234], s[36:37], v[34:35]
	v_add_f64 v[172:173], v[34:35], v[24:25]
	v_mul_f64 v[24:25], v[241:242], s[50:51]
	buffer_store_dword v24, off, s[64:67], 0 offset:784 ; 4-byte Folded Spill
	s_nop 0
	buffer_store_dword v25, off, s[64:67], 0 offset:788 ; 4-byte Folded Spill
	v_fma_f64 v[24:25], v[235:236], s[36:37], -v[24:25]
	v_add_f64 v[174:175], v[24:25], v[22:23]
	v_mul_f64 v[22:23], v[28:29], s[40:41]
	v_fma_f64 v[24:25], v[26:27], s[18:19], v[22:23]
	v_add_f64 v[34:35], v[180:181], v[24:25]
	v_mul_f64 v[24:25], v[224:225], s[44:45]
	v_fma_f64 v[36:37], v[226:227], s[38:39], v[24:25]
	v_add_f64 v[34:35], v[36:37], v[34:35]
	v_fma_f64 v[36:37], v[220:221], s[18:19], -v[64:65]
	v_add_f64 v[36:37], v[182:183], v[36:37]
	v_add_f64 v[36:37], v[56:57], v[36:37]
	v_fma_f64 v[56:57], v[40:41], s[30:31], v[245:246]
	v_add_f64 v[56:57], v[56:57], v[34:35]
	v_fma_f64 v[34:35], v[42:43], s[30:31], -v[192:193]
	v_add_f64 v[36:37], v[34:35], v[36:37]
	v_mul_f64 v[34:35], v[0:1], s[54:55]
	v_fma_f64 v[58:59], v[30:31], s[4:5], v[34:35]
	v_add_f64 v[58:59], v[58:59], v[56:57]
	v_fma_f64 v[56:57], v[32:33], s[4:5], -v[247:248]
	v_add_f64 v[36:37], v[56:57], v[36:37]
	v_mul_f64 v[56:57], v[2:3], s[22:23]
	;; [unrolled: 5-line block ×4, first 2 shown]
	v_fma_f64 v[70:71], v[218:219], s[24:25], v[60:61]
	v_add_f64 v[176:177], v[70:71], v[62:63]
	v_mul_f64 v[70:71], v[216:217], s[60:61]
	v_fma_f64 v[62:63], v[214:215], s[24:25], -v[70:71]
	v_add_f64 v[178:179], v[62:63], v[36:37]
	v_mul_f64 v[62:63], v[237:238], s[52:53]
	v_fma_f64 v[36:37], v[233:234], s[16:17], v[62:63]
	v_add_f64 v[176:177], v[36:37], v[176:177]
	v_mul_f64 v[36:37], v[241:242], s[52:53]
	v_fma_f64 v[196:197], v[235:236], s[16:17], -v[36:37]
	v_add_f64 v[178:179], v[196:197], v[178:179]
	s_and_saveexec_b64 s[34:35], s[2:3]
	s_cbranch_execz .LBB0_9
; %bb.8:
	v_mul_f64 v[196:197], v[220:221], s[38:39]
	buffer_store_dword v198, off, s[64:67], 0 offset:892 ; 4-byte Folded Spill
	s_nop 0
	buffer_store_dword v199, off, s[64:67], 0 offset:896 ; 4-byte Folded Spill
	buffer_store_dword v200, off, s[64:67], 0 offset:916 ; 4-byte Folded Spill
	s_nop 0
	buffer_store_dword v201, off, s[64:67], 0 offset:920 ; 4-byte Folded Spill
	v_mul_f64 v[200:201], v[222:223], s[4:5]
	buffer_store_dword v202, off, s[64:67], 0 offset:924 ; 4-byte Folded Spill
	s_nop 0
	buffer_store_dword v203, off, s[64:67], 0 offset:928 ; 4-byte Folded Spill
	buffer_store_dword v204, off, s[64:67], 0 offset:932 ; 4-byte Folded Spill
	s_nop 0
	buffer_store_dword v205, off, s[64:67], 0 offset:936 ; 4-byte Folded Spill
	;; [unrolled: 3-line block ×3, first 2 shown]
	v_mul_f64 v[206:207], v[224:225], s[54:55]
	v_fma_f64 v[198:199], v[44:45], s[58:59], v[196:197]
	buffer_store_dword v117, off, s[64:67], 0 offset:864 ; 4-byte Folded Spill
	buffer_store_dword v118, off, s[64:67], 0 offset:868 ; 4-byte Folded Spill
	;; [unrolled: 1-line block ×3, first 2 shown]
	v_fma_f64 v[202:203], v[48:49], s[20:21], v[200:201]
	v_mul_f64 v[118:119], v[42:43], s[36:37]
	buffer_store_dword v120, off, s[64:67], 0 offset:800 ; 4-byte Folded Spill
	s_nop 0
	buffer_store_dword v121, off, s[64:67], 0 offset:804 ; 4-byte Folded Spill
	buffer_store_dword v122, off, s[64:67], 0 offset:808 ; 4-byte Folded Spill
	;; [unrolled: 1-line block ×4, first 2 shown]
	s_nop 0
	buffer_store_dword v125, off, s[64:67], 0 offset:820 ; 4-byte Folded Spill
	buffer_store_dword v126, off, s[64:67], 0 offset:824 ; 4-byte Folded Spill
	;; [unrolled: 1-line block ×3, first 2 shown]
	v_fma_f64 v[116:117], v[226:227], s[4:5], v[206:207]
	v_add_f64 v[198:199], v[182:183], v[198:199]
	buffer_store_dword v128, off, s[64:67], 0 offset:948 ; 4-byte Folded Spill
	s_nop 0
	buffer_store_dword v129, off, s[64:67], 0 offset:952 ; 4-byte Folded Spill
	buffer_store_dword v130, off, s[64:67], 0 offset:956 ; 4-byte Folded Spill
	s_nop 0
	buffer_store_dword v131, off, s[64:67], 0 offset:960 ; 4-byte Folded Spill
	;; [unrolled: 3-line block ×3, first 2 shown]
	buffer_store_dword v134, off, s[64:67], 0 offset:840 ; 4-byte Folded Spill
	buffer_store_dword v135, off, s[64:67], 0 offset:844 ; 4-byte Folded Spill
	;; [unrolled: 1-line block ×3, first 2 shown]
	s_nop 0
	buffer_store_dword v137, off, s[64:67], 0 offset:852 ; 4-byte Folded Spill
	buffer_store_dword v138, off, s[64:67], 0 offset:856 ; 4-byte Folded Spill
	;; [unrolled: 1-line block ×4, first 2 shown]
	s_nop 0
	buffer_store_dword v141, off, s[64:67], 0 offset:1016 ; 4-byte Folded Spill
	s_mov_b32 s63, 0x3fefdd0d
	s_mov_b32 s62, s40
	v_add_f64 v[198:199], v[202:203], v[198:199]
	v_mul_f64 v[202:203], v[28:29], s[44:45]
	v_mov_b32_e32 v143, v75
	v_mov_b32_e32 v142, v74
	;; [unrolled: 1-line block ×4, first 2 shown]
	v_fma_f64 v[204:205], v[26:27], s[38:39], v[202:203]
	v_add_f64 v[204:205], v[180:181], v[204:205]
	v_add_f64 v[116:117], v[116:117], v[204:205]
	v_fma_f64 v[204:205], v[251:252], s[48:49], v[118:119]
	v_fma_f64 v[118:119], v[251:252], s[50:51], v[118:119]
	v_add_f64 v[198:199], v[204:205], v[198:199]
	v_mul_f64 v[204:205], v[253:254], s[50:51]
	v_fma_f64 v[120:121], v[40:41], s[36:37], v[204:205]
	v_add_f64 v[116:117], v[120:121], v[116:117]
	v_mul_f64 v[120:121], v[32:33], s[16:17]
	v_fma_f64 v[122:123], v[184:185], s[28:29], v[120:121]
	v_fma_f64 v[120:121], v[184:185], s[52:53], v[120:121]
	v_add_f64 v[122:123], v[122:123], v[198:199]
	v_mul_f64 v[198:199], v[0:1], s[52:53]
	v_fma_f64 v[124:125], v[30:31], s[16:17], v[198:199]
	v_add_f64 v[116:117], v[124:125], v[116:117]
	v_mul_f64 v[124:125], v[228:229], s[24:25]
	;; [unrolled: 3-line block ×9, first 2 shown]
	v_fma_f64 v[138:139], v[233:234], s[18:19], v[122:123]
	v_fma_f64 v[122:123], v[233:234], s[18:19], -v[122:123]
	v_add_f64 v[72:73], v[138:139], v[116:117]
	v_fma_f64 v[116:117], v[44:45], s[44:45], v[196:197]
	v_fma_f64 v[138:139], v[48:49], s[54:55], v[200:201]
	v_fma_f64 v[196:197], v[226:227], s[4:5], -v[206:207]
	buffer_store_dword v72, off, s[64:67], 0 offset:900 ; 4-byte Folded Spill
	s_nop 0
	buffer_store_dword v73, off, s[64:67], 0 offset:904 ; 4-byte Folded Spill
	buffer_store_dword v74, off, s[64:67], 0 offset:908 ; 4-byte Folded Spill
	;; [unrolled: 1-line block ×3, first 2 shown]
	v_add_f64 v[116:117], v[182:183], v[116:117]
	v_mov_b32_e32 v72, v140
	v_mov_b32_e32 v73, v141
	;; [unrolled: 1-line block ×4, first 2 shown]
	v_add_f64 v[116:117], v[138:139], v[116:117]
	v_fma_f64 v[138:139], v[26:27], s[38:39], -v[202:203]
	v_add_f64 v[116:117], v[118:119], v[116:117]
	v_add_f64 v[138:139], v[180:181], v[138:139]
	v_fma_f64 v[118:119], v[40:41], s[36:37], -v[204:205]
	v_add_f64 v[116:117], v[120:121], v[116:117]
	;; [unrolled: 3-line block ×3, first 2 shown]
	v_add_f64 v[118:119], v[120:121], v[118:119]
	v_fma_f64 v[120:121], v[4:5], s[26:27], v[124:125]
	v_add_f64 v[116:117], v[120:121], v[116:117]
	v_fma_f64 v[120:121], v[8:9], s[56:57], v[128:129]
	;; [unrolled: 2-line block ×3, first 2 shown]
	v_add_f64 v[116:117], v[120:121], v[116:117]
	v_fma_f64 v[120:121], v[38:39], s[24:25], -v[126:127]
	v_add_f64 v[118:119], v[120:121], v[118:119]
	v_fma_f64 v[120:121], v[230:231], s[14:15], -v[130:131]
	;; [unrolled: 2-line block ×3, first 2 shown]
	v_add_f64 v[118:119], v[120:121], v[118:119]
	v_fma_f64 v[120:121], v[241:242], s[62:63], v[136:137]
	v_mul_f64 v[136:137], v[224:225], s[56:57]
	v_add_f64 v[118:119], v[122:123], v[118:119]
	v_add_f64 v[120:121], v[120:121], v[116:117]
	v_mul_f64 v[116:117], v[220:221], s[36:37]
	buffer_store_dword v118, off, s[64:67], 0 offset:964 ; 4-byte Folded Spill
	s_nop 0
	buffer_store_dword v119, off, s[64:67], 0 offset:968 ; 4-byte Folded Spill
	buffer_store_dword v120, off, s[64:67], 0 offset:972 ; 4-byte Folded Spill
	;; [unrolled: 1-line block ×3, first 2 shown]
	v_fma_f64 v[118:119], v[44:45], s[48:49], v[116:117]
	v_mul_f64 v[120:121], v[222:223], s[14:15]
	v_fma_f64 v[116:117], v[44:45], s[50:51], v[116:117]
	v_fma_f64 v[138:139], v[226:227], s[14:15], v[136:137]
	v_add_f64 v[118:119], v[182:183], v[118:119]
	v_fma_f64 v[122:123], v[48:49], s[22:23], v[120:121]
	v_fma_f64 v[120:121], v[48:49], s[56:57], v[120:121]
	v_add_f64 v[116:117], v[182:183], v[116:117]
	v_add_f64 v[118:119], v[122:123], v[118:119]
	v_mul_f64 v[122:123], v[42:43], s[18:19]
	v_add_f64 v[116:117], v[120:121], v[116:117]
	v_fma_f64 v[124:125], v[251:252], s[62:63], v[122:123]
	v_fma_f64 v[120:121], v[251:252], s[40:41], v[122:123]
	v_fma_f64 v[122:123], v[226:227], s[14:15], -v[136:137]
	v_mul_f64 v[136:137], v[224:225], s[46:47]
	v_add_f64 v[118:119], v[124:125], v[118:119]
	v_mul_f64 v[124:125], v[32:33], s[24:25]
	v_add_f64 v[116:117], v[120:121], v[116:117]
	v_fma_f64 v[126:127], v[184:185], s[26:27], v[124:125]
	v_fma_f64 v[120:121], v[184:185], s[60:61], v[124:125]
	v_add_f64 v[118:119], v[126:127], v[118:119]
	v_mul_f64 v[126:127], v[228:229], s[4:5]
	v_add_f64 v[116:117], v[120:121], v[116:117]
	v_fma_f64 v[128:129], v[4:5], s[54:55], v[126:127]
	v_fma_f64 v[120:121], v[4:5], s[20:21], v[126:127]
	;; [unrolled: 5-line block ×4, first 2 shown]
	v_add_f64 v[118:119], v[132:133], v[118:119]
	v_mul_f64 v[132:133], v[28:29], s[50:51]
	v_add_f64 v[116:117], v[120:121], v[116:117]
	v_fma_f64 v[134:135], v[26:27], s[36:37], v[132:133]
	v_fma_f64 v[120:121], v[26:27], s[36:37], -v[132:133]
	v_add_f64 v[134:135], v[180:181], v[134:135]
	v_add_f64 v[120:121], v[180:181], v[120:121]
	;; [unrolled: 1-line block ×3, first 2 shown]
	v_mul_f64 v[138:139], v[253:254], s[40:41]
	v_add_f64 v[120:121], v[122:123], v[120:121]
	v_fma_f64 v[196:197], v[40:41], s[18:19], v[138:139]
	v_fma_f64 v[122:123], v[40:41], s[18:19], -v[138:139]
	v_fma_f64 v[138:139], v[226:227], s[30:31], v[136:137]
	v_add_f64 v[134:135], v[196:197], v[134:135]
	v_mul_f64 v[196:197], v[0:1], s[60:61]
	v_add_f64 v[120:121], v[122:123], v[120:121]
	v_fma_f64 v[198:199], v[30:31], s[24:25], v[196:197]
	v_fma_f64 v[122:123], v[30:31], s[24:25], -v[196:197]
	v_add_f64 v[134:135], v[198:199], v[134:135]
	v_mul_f64 v[198:199], v[2:3], s[20:21]
	v_add_f64 v[120:121], v[122:123], v[120:121]
	v_fma_f64 v[200:201], v[38:39], s[4:5], v[198:199]
	v_fma_f64 v[122:123], v[38:39], s[4:5], -v[198:199]
	;; [unrolled: 5-line block ×4, first 2 shown]
	v_add_f64 v[134:135], v[204:205], v[134:135]
	v_mul_f64 v[204:205], v[235:236], s[30:31]
	v_add_f64 v[120:121], v[122:123], v[120:121]
	v_fma_f64 v[206:207], v[241:242], s[46:47], v[204:205]
	v_fma_f64 v[122:123], v[241:242], s[42:43], v[204:205]
	v_mul_f64 v[204:205], v[0:1], s[50:51]
	v_mul_f64 v[0:1], v[0:1], s[22:23]
	v_add_f64 v[142:143], v[206:207], v[118:119]
	v_mul_f64 v[118:119], v[237:238], s[42:43]
	v_add_f64 v[198:199], v[122:123], v[116:117]
	v_mul_f64 v[116:117], v[220:221], s[24:25]
	v_fma_f64 v[206:207], v[233:234], s[30:31], v[118:119]
	v_fma_f64 v[118:119], v[233:234], s[30:31], -v[118:119]
	v_add_f64 v[140:141], v[206:207], v[134:135]
	v_add_f64 v[196:197], v[118:119], v[120:121]
	v_fma_f64 v[118:119], v[44:45], s[60:61], v[116:117]
	v_mul_f64 v[120:121], v[222:223], s[30:31]
	v_fma_f64 v[116:117], v[44:45], s[26:27], v[116:117]
	v_mul_f64 v[206:207], v[2:3], s[62:63]
	buffer_store_dword v140, off, s[64:67], 0 offset:980 ; 4-byte Folded Spill
	s_nop 0
	buffer_store_dword v141, off, s[64:67], 0 offset:984 ; 4-byte Folded Spill
	buffer_store_dword v142, off, s[64:67], 0 offset:988 ; 4-byte Folded Spill
	;; [unrolled: 1-line block ×3, first 2 shown]
	v_mul_f64 v[140:141], v[10:11], s[28:29]
	v_add_f64 v[118:119], v[182:183], v[118:119]
	v_fma_f64 v[122:123], v[48:49], s[42:43], v[120:121]
	v_fma_f64 v[120:121], v[48:49], s[46:47], v[120:121]
	v_add_f64 v[116:117], v[182:183], v[116:117]
	buffer_store_dword v164, off, s[64:67], 0 offset:876 ; 4-byte Folded Spill
	s_nop 0
	buffer_store_dword v165, off, s[64:67], 0 offset:880 ; 4-byte Folded Spill
	buffer_store_dword v166, off, s[64:67], 0 offset:884 ; 4-byte Folded Spill
	;; [unrolled: 1-line block ×4, first 2 shown]
	s_nop 0
	buffer_store_dword v53, off, s[64:67], 0 offset:1000 ; 4-byte Folded Spill
	buffer_store_dword v54, off, s[64:67], 0 offset:1004 ; 4-byte Folded Spill
	s_nop 0
	buffer_store_dword v55, off, s[64:67], 0 offset:1008 ; 4-byte Folded Spill
	v_mov_b32_e32 v52, v160
	v_fma_f64 v[142:143], v[230:231], s[16:17], v[140:141]
	v_mov_b32_e32 v53, v161
	v_add_f64 v[118:119], v[122:123], v[118:119]
	v_mul_f64 v[122:123], v[42:43], s[4:5]
	v_add_f64 v[116:117], v[120:121], v[116:117]
	v_mov_b32_e32 v54, v162
	v_mov_b32_e32 v55, v163
	;; [unrolled: 1-line block ×6, first 2 shown]
	v_fma_f64 v[124:125], v[251:252], s[54:55], v[122:123]
	v_fma_f64 v[120:121], v[251:252], s[20:21], v[122:123]
	v_fma_f64 v[122:123], v[226:227], s[30:31], -v[136:137]
	v_mov_b32_e32 v159, v155
	v_mov_b32_e32 v158, v154
	;; [unrolled: 1-line block ×5, first 2 shown]
	v_add_f64 v[118:119], v[124:125], v[118:119]
	v_mul_f64 v[124:125], v[32:33], s[36:37]
	v_add_f64 v[116:117], v[120:121], v[116:117]
	v_mov_b32_e32 v154, v150
	v_mov_b32_e32 v153, v149
	;; [unrolled: 1-line block ×6, first 2 shown]
	v_fma_f64 v[126:127], v[184:185], s[48:49], v[124:125]
	v_fma_f64 v[120:121], v[184:185], s[50:51], v[124:125]
	v_mov_b32_e32 v148, v144
	v_mul_f64 v[144:145], v[235:236], s[14:15]
	v_mul_f64 v[2:3], v[2:3], s[44:45]
	;; [unrolled: 1-line block ×3, first 2 shown]
	v_mov_b32_e32 v166, v186
	v_mov_b32_e32 v167, v187
	v_add_f64 v[118:119], v[126:127], v[118:119]
	v_mul_f64 v[126:127], v[228:229], s[18:19]
	v_add_f64 v[116:117], v[120:121], v[116:117]
	v_fma_f64 v[146:147], v[241:242], s[22:23], v[144:145]
	v_fma_f64 v[128:129], v[4:5], s[40:41], v[126:127]
	;; [unrolled: 1-line block ×3, first 2 shown]
	v_add_f64 v[118:119], v[128:129], v[118:119]
	v_mul_f64 v[128:129], v[212:213], s[16:17]
	v_add_f64 v[116:117], v[120:121], v[116:117]
	v_fma_f64 v[130:131], v[8:9], s[52:53], v[128:129]
	v_fma_f64 v[120:121], v[8:9], s[28:29], v[128:129]
	v_add_f64 v[118:119], v[130:131], v[118:119]
	v_mul_f64 v[130:131], v[214:215], s[38:39]
	v_add_f64 v[116:117], v[120:121], v[116:117]
	v_fma_f64 v[132:133], v[216:217], s[58:59], v[130:131]
	v_fma_f64 v[120:121], v[216:217], s[44:45], v[130:131]
	v_add_f64 v[118:119], v[132:133], v[118:119]
	v_mul_f64 v[132:133], v[28:29], s[26:27]
	v_add_f64 v[116:117], v[120:121], v[116:117]
	v_mul_f64 v[28:29], v[28:29], s[42:43]
	v_add_f64 v[202:203], v[146:147], v[118:119]
	v_fma_f64 v[134:135], v[26:27], s[24:25], v[132:133]
	v_fma_f64 v[120:121], v[26:27], s[24:25], -v[132:133]
	v_mul_f64 v[118:119], v[237:238], s[56:57]
	v_add_f64 v[134:135], v[180:181], v[134:135]
	v_add_f64 v[120:121], v[180:181], v[120:121]
	v_fma_f64 v[146:147], v[233:234], s[14:15], v[118:119]
	v_fma_f64 v[118:119], v[233:234], s[14:15], -v[118:119]
	v_add_f64 v[134:135], v[138:139], v[134:135]
	v_mul_f64 v[138:139], v[253:254], s[20:21]
	v_add_f64 v[120:121], v[122:123], v[120:121]
	v_fma_f64 v[200:201], v[40:41], s[4:5], v[138:139]
	v_fma_f64 v[122:123], v[40:41], s[4:5], -v[138:139]
	v_mul_f64 v[138:139], v[237:238], s[26:27]
	v_add_f64 v[134:135], v[200:201], v[134:135]
	v_fma_f64 v[200:201], v[30:31], s[36:37], v[204:205]
	v_add_f64 v[120:121], v[122:123], v[120:121]
	v_fma_f64 v[122:123], v[30:31], s[36:37], -v[204:205]
	v_fma_f64 v[186:187], v[233:234], s[24:25], v[138:139]
	v_fma_f64 v[138:139], v[233:234], s[24:25], -v[138:139]
	v_add_f64 v[134:135], v[200:201], v[134:135]
	v_fma_f64 v[200:201], v[38:39], s[18:19], v[206:207]
	v_add_f64 v[120:121], v[122:123], v[120:121]
	v_fma_f64 v[122:123], v[38:39], s[18:19], -v[206:207]
	v_add_f64 v[134:135], v[200:201], v[134:135]
	v_add_f64 v[120:121], v[122:123], v[120:121]
	v_fma_f64 v[122:123], v[230:231], s[16:17], -v[140:141]
	v_add_f64 v[134:135], v[142:143], v[134:135]
	v_mul_f64 v[142:143], v[14:15], s[44:45]
	v_mul_f64 v[14:15], v[14:15], s[20:21]
	v_add_f64 v[120:121], v[122:123], v[120:121]
	v_fma_f64 v[122:123], v[218:219], s[38:39], -v[142:143]
	v_fma_f64 v[200:201], v[218:219], s[38:39], v[142:143]
	v_mul_f64 v[142:143], v[233:234], s[4:5]
	v_add_f64 v[120:121], v[122:123], v[120:121]
	v_fma_f64 v[122:123], v[241:242], s[56:57], v[144:145]
	v_add_f64 v[134:135], v[200:201], v[134:135]
	v_add_f64 v[204:205], v[118:119], v[120:121]
	;; [unrolled: 1-line block ×3, first 2 shown]
	v_mul_f64 v[116:117], v[220:221], s[30:31]
	v_mul_f64 v[120:121], v[222:223], s[36:37]
	v_add_f64 v[200:201], v[146:147], v[134:135]
	v_fma_f64 v[134:135], v[26:27], s[30:31], v[28:29]
	v_fma_f64 v[28:29], v[26:27], s[30:31], -v[28:29]
	v_mul_f64 v[146:147], v[235:236], s[4:5]
	v_fma_f64 v[118:119], v[44:45], s[46:47], v[116:117]
	v_fma_f64 v[122:123], v[48:49], s[50:51], v[120:121]
	;; [unrolled: 1-line block ×3, first 2 shown]
	v_add_f64 v[134:135], v[180:181], v[134:135]
	v_mul_f64 v[116:117], v[253:254], s[52:53]
	v_fma_f64 v[48:49], v[48:49], s[48:49], v[120:121]
	v_add_f64 v[28:29], v[180:181], v[28:29]
	v_add_f64 v[118:119], v[182:183], v[118:119]
	;; [unrolled: 1-line block ×4, first 2 shown]
	v_mul_f64 v[122:123], v[42:43], s[16:17]
	v_add_f64 v[44:45], v[48:49], v[44:45]
	v_fma_f64 v[48:49], v[30:31], s[14:15], v[0:1]
	v_fma_f64 v[0:1], v[30:31], s[14:15], -v[0:1]
	v_fma_f64 v[124:125], v[251:252], s[28:29], v[122:123]
	v_fma_f64 v[122:123], v[251:252], s[52:53], v[122:123]
	v_add_f64 v[118:119], v[124:125], v[118:119]
	v_mul_f64 v[124:125], v[32:33], s[14:15]
	v_add_f64 v[44:45], v[122:123], v[44:45]
	v_fma_f64 v[122:123], v[38:39], s[38:39], v[2:3]
	v_fma_f64 v[2:3], v[38:39], s[38:39], -v[2:3]
	v_fma_f64 v[126:127], v[184:185], s[56:57], v[124:125]
	v_fma_f64 v[120:121], v[184:185], s[22:23], v[124:125]
	v_mul_f64 v[184:185], v[235:236], s[36:37]
	v_add_f64 v[118:119], v[126:127], v[118:119]
	v_mul_f64 v[126:127], v[228:229], s[38:39]
	v_add_f64 v[44:45], v[120:121], v[44:45]
	v_fma_f64 v[120:121], v[230:231], s[18:19], v[10:11]
	v_fma_f64 v[128:129], v[4:5], s[58:59], v[126:127]
	;; [unrolled: 1-line block ×3, first 2 shown]
	v_mul_f64 v[126:127], v[230:231], s[4:5]
	v_add_f64 v[118:119], v[128:129], v[118:119]
	v_mul_f64 v[128:129], v[212:213], s[18:19]
	v_add_f64 v[4:5], v[4:5], v[44:45]
	v_fma_f64 v[44:45], v[218:219], s[4:5], v[14:15]
	v_fma_f64 v[130:131], v[8:9], s[40:41], v[128:129]
	;; [unrolled: 1-line block ×3, first 2 shown]
	v_add_f64 v[118:119], v[130:131], v[118:119]
	v_mul_f64 v[130:131], v[214:215], s[4:5]
	v_add_f64 v[4:5], v[8:9], v[4:5]
	v_mul_f64 v[8:9], v[235:236], s[24:25]
	v_fma_f64 v[132:133], v[216:217], s[54:55], v[130:131]
	v_add_f64 v[118:119], v[132:133], v[118:119]
	v_mul_f64 v[132:133], v[224:225], s[48:49]
	v_fma_f64 v[136:137], v[226:227], s[36:37], v[132:133]
	v_add_f64 v[134:135], v[136:137], v[134:135]
	v_fma_f64 v[136:137], v[40:41], s[16:17], v[116:117]
	v_add_f64 v[134:135], v[136:137], v[134:135]
	v_add_f64 v[48:49], v[48:49], v[134:135]
	v_mul_f64 v[134:135], v[218:219], s[18:19]
	v_add_f64 v[48:49], v[122:123], v[48:49]
	v_mul_f64 v[122:123], v[212:213], s[24:25]
	v_add_f64 v[48:49], v[120:121], v[48:49]
	v_fma_f64 v[120:121], v[241:242], s[60:61], v[8:9]
	v_fma_f64 v[8:9], v[241:242], s[26:27], v[8:9]
	v_add_f64 v[44:45], v[44:45], v[48:49]
	v_fma_f64 v[48:49], v[216:217], s[20:21], v[130:131]
	v_mul_f64 v[130:131], v[214:215], s[36:37]
	v_add_f64 v[4:5], v[48:49], v[4:5]
	v_fma_f64 v[48:49], v[226:227], s[36:37], -v[132:133]
	v_mul_f64 v[132:133], v[214:215], s[14:15]
	v_add_f64 v[28:29], v[48:49], v[28:29]
	v_fma_f64 v[48:49], v[40:41], s[16:17], -v[116:117]
	v_add_f64 v[28:29], v[48:49], v[28:29]
	v_mul_f64 v[48:49], v[220:221], s[4:5]
	v_add_f64 v[0:1], v[0:1], v[28:29]
	v_mul_f64 v[28:29], v[26:27], s[18:19]
	v_add_f64 v[0:1], v[2:3], v[0:1]
	v_fma_f64 v[2:3], v[230:231], s[18:19], -v[10:11]
	v_mul_f64 v[10:11], v[220:221], s[18:19]
	v_add_f64 v[22:23], v[28:29], -v[22:23]
	v_mul_f64 v[28:29], v[226:227], s[38:39]
	v_add_f64 v[0:1], v[2:3], v[0:1]
	v_fma_f64 v[2:3], v[218:219], s[4:5], -v[14:15]
	v_add_f64 v[10:11], v[64:65], v[10:11]
	v_mul_f64 v[14:15], v[222:223], s[38:39]
	v_add_f64 v[24:25], v[28:29], -v[24:25]
	v_add_f64 v[22:23], v[180:181], v[22:23]
	v_add_f64 v[0:1], v[2:3], v[0:1]
	v_mul_f64 v[2:3], v[42:43], s[30:31]
	v_add_f64 v[14:15], v[66:67], v[14:15]
	v_add_f64 v[10:11], v[182:183], v[10:11]
	;; [unrolled: 1-line block ×3, first 2 shown]
	v_mul_f64 v[24:25], v[30:31], s[4:5]
	v_add_f64 v[2:3], v[192:193], v[2:3]
	v_add_f64 v[10:11], v[14:15], v[10:11]
	v_mul_f64 v[14:15], v[32:33], s[4:5]
	v_add_f64 v[24:25], v[24:25], -v[34:35]
	v_add_f64 v[2:3], v[2:3], v[10:11]
	v_add_f64 v[14:15], v[247:248], v[14:15]
	v_mul_f64 v[10:11], v[228:229], s[14:15]
	v_add_f64 v[2:3], v[14:15], v[2:3]
	v_add_f64 v[10:11], v[194:195], v[10:11]
	v_mul_f64 v[14:15], v[212:213], s[36:37]
	;; [unrolled: 3-line block ×4, first 2 shown]
	v_mul_f64 v[70:71], v[228:229], s[36:37]
	v_add_f64 v[10:11], v[10:11], v[2:3]
	v_mul_f64 v[2:3], v[40:41], s[30:31]
	v_add_f64 v[14:15], v[36:37], v[14:15]
	v_add_f64 v[2:3], v[2:3], -v[245:246]
	v_add_f64 v[10:11], v[14:15], v[10:11]
	v_add_f64 v[2:3], v[2:3], v[22:23]
	v_mul_f64 v[22:23], v[38:39], s[14:15]
	v_add_f64 v[2:3], v[24:25], v[2:3]
	v_add_f64 v[22:23], v[22:23], -v[56:57]
	v_mul_f64 v[24:25], v[230:231], s[36:37]
	v_add_f64 v[2:3], v[22:23], v[2:3]
	v_add_f64 v[24:25], v[24:25], -v[58:59]
	v_mul_f64 v[22:23], v[218:219], s[24:25]
	v_mul_f64 v[58:59], v[226:227], s[18:19]
	v_add_f64 v[2:3], v[24:25], v[2:3]
	v_mul_f64 v[24:25], v[233:234], s[16:17]
	v_add_f64 v[22:23], v[22:23], -v[60:61]
	v_add_f64 v[28:29], v[24:25], -v[62:63]
	v_mul_f64 v[24:25], v[220:221], s[14:15]
	v_add_f64 v[34:35], v[22:23], v[2:3]
	v_mul_f64 v[2:3], v[214:215], s[18:19]
	v_add_f64 v[16:17], v[16:17], v[24:25]
	;; [unrolled: 2-line block ×4, first 2 shown]
	v_add_f64 v[18:19], v[18:19], v[24:25]
	v_mul_f64 v[24:25], v[42:43], s[24:25]
	v_add_f64 v[2:3], v[188:189], v[2:3]
	v_mul_f64 v[42:43], v[42:43], s[14:15]
	v_mul_f64 v[188:189], v[233:234], s[36:37]
	v_add_f64 v[16:17], v[18:19], v[16:17]
	v_mul_f64 v[18:19], v[32:33], s[30:31]
	v_add_f64 v[2:3], v[2:3], v[16:17]
	v_add_f64 v[18:19], v[20:21], v[18:19]
	v_mul_f64 v[16:17], v[228:229], s[16:17]
	v_mul_f64 v[20:21], v[26:27], s[14:15]
	v_add_f64 v[2:3], v[18:19], v[2:3]
	v_add_f64 v[16:17], v[190:191], v[16:17]
	v_mul_f64 v[18:19], v[212:213], s[4:5]
	v_add_f64 v[12:13], v[20:21], -v[12:13]
	v_mul_f64 v[20:21], v[226:227], s[24:25]
	v_add_f64 v[2:3], v[16:17], v[2:3]
	v_add_f64 v[18:19], v[239:240], v[18:19]
	v_mul_f64 v[16:17], v[40:41], s[38:39]
	v_add_f64 v[20:21], v[20:21], -v[46:47]
	v_mul_f64 v[46:47], v[26:27], s[4:5]
	v_add_f64 v[12:13], v[180:181], v[12:13]
	v_add_f64 v[18:19], v[18:19], v[2:3]
	v_mul_f64 v[2:3], v[212:213], s[30:31]
	v_add_f64 v[16:17], v[16:17], -v[210:211]
	v_add_f64 v[12:13], v[20:21], v[12:13]
	v_mul_f64 v[20:21], v[30:31], s[30:31]
	v_add_f64 v[36:37], v[6:7], v[2:3]
	buffer_load_dword v2, off, s[64:67], 0 offset:1012 ; 4-byte Folded Reload
	buffer_load_dword v3, off, s[64:67], 0 offset:1016 ; 4-byte Folded Reload
	v_mul_f64 v[6:7], v[222:223], s[18:19]
	v_add_f64 v[12:13], v[16:17], v[12:13]
	v_add_f64 v[20:21], v[20:21], -v[50:51]
	v_mul_f64 v[16:17], v[38:39], s[16:17]
	v_mul_f64 v[50:51], v[222:223], s[16:17]
	v_add_f64 v[12:13], v[20:21], v[12:13]
	v_mul_f64 v[20:21], v[220:221], s[16:17]
	v_add_f64 v[16:17], v[16:17], -v[208:209]
	v_add_f64 v[12:13], v[16:17], v[12:13]
	v_add_f64 v[16:17], v[22:23], v[18:19]
	s_waitcnt vmcnt(0)
	v_add_f64 v[2:3], v[2:3], v[24:25]
	v_mul_f64 v[24:25], v[26:27], s[16:17]
	buffer_load_dword v26, off, s[64:67], 0 offset:576 ; 4-byte Folded Reload
	buffer_load_dword v27, off, s[64:67], 0 offset:580 ; 4-byte Folded Reload
	;; [unrolled: 1-line block ×20, first 2 shown]
	s_waitcnt vmcnt(18)
	v_add_f64 v[20:21], v[26:27], v[20:21]
	s_waitcnt vmcnt(16)
	v_add_f64 v[56:57], v[182:183], v[56:57]
	;; [unrolled: 2-line block ×4, first 2 shown]
	v_mul_f64 v[26:27], v[226:227], s[16:17]
	v_mul_f64 v[62:63], v[40:41], s[14:15]
	;; [unrolled: 1-line block ×3, first 2 shown]
	v_add_f64 v[20:21], v[182:183], v[20:21]
	s_waitcnt vmcnt(10)
	v_add_f64 v[56:57], v[56:57], v[64:65]
	s_waitcnt vmcnt(8)
	v_add_f64 v[60:61], v[60:61], v[66:67]
	v_mul_f64 v[66:67], v[32:33], s[18:19]
	v_mul_f64 v[32:33], v[32:33], s[38:39]
	;; [unrolled: 1-line block ×4, first 2 shown]
	v_add_f64 v[6:7], v[6:7], v[20:21]
	s_waitcnt vmcnt(6)
	v_add_f64 v[56:57], v[56:57], v[68:69]
	s_waitcnt vmcnt(4)
	v_add_f64 v[60:61], v[60:61], v[116:117]
	v_mul_f64 v[20:21], v[38:39], s[30:31]
	s_waitcnt vmcnt(2)
	v_add_f64 v[32:33], v[124:125], v[32:33]
	v_mul_f64 v[38:39], v[38:39], s[36:37]
	v_mul_f64 v[124:125], v[230:231], s[30:31]
	;; [unrolled: 1-line block ×3, first 2 shown]
	v_add_f64 v[2:3], v[2:3], v[6:7]
	buffer_load_dword v6, off, s[64:67], 0 offset:496 ; 4-byte Folded Reload
	buffer_load_dword v7, off, s[64:67], 0 offset:500 ; 4-byte Folded Reload
	;; [unrolled: 1-line block ×6, first 2 shown]
	s_waitcnt vmcnt(6)
	v_add_f64 v[56:57], v[56:57], v[128:129]
	v_mul_f64 v[116:117], v[230:231], s[24:25]
	v_mul_f64 v[128:129], v[218:219], s[36:37]
	v_add_f64 v[32:33], v[32:33], v[2:3]
	buffer_load_dword v2, off, s[64:67], 0 offset:480 ; 4-byte Folded Reload
	buffer_load_dword v3, off, s[64:67], 0 offset:484 ; 4-byte Folded Reload
	s_waitcnt vmcnt(6)
	v_add_f64 v[6:7], v[60:61], v[6:7]
	s_waitcnt vmcnt(4)
	v_add_f64 v[56:57], v[56:57], v[136:137]
	;; [unrolled: 2-line block ×3, first 2 shown]
	v_mul_f64 v[60:61], v[218:219], s[14:15]
	v_mul_f64 v[136:137], v[233:234], s[38:39]
	;; [unrolled: 1-line block ×3, first 2 shown]
	s_waitcnt vmcnt(0)
	v_add_f64 v[144:145], v[6:7], v[2:3]
	buffer_load_dword v2, off, s[64:67], 0 offset:472 ; 4-byte Folded Reload
	buffer_load_dword v3, off, s[64:67], 0 offset:476 ; 4-byte Folded Reload
	v_add_f64 v[6:7], v[8:9], v[4:5]
	v_add_f64 v[8:9], v[70:71], v[32:33]
	;; [unrolled: 1-line block ×3, first 2 shown]
	s_waitcnt vmcnt(0)
	v_add_f64 v[56:57], v[56:57], v[2:3]
	v_add_f64 v[2:3], v[120:121], v[118:119]
	buffer_load_dword v119, off, s[64:67], 0 offset:872 ; 4-byte Folded Reload
	buffer_load_dword v118, off, s[64:67], 0 offset:868 ; 4-byte Folded Reload
	;; [unrolled: 1-line block ×12, first 2 shown]
	s_waitcnt vmcnt(8)
	v_add_f64 v[4:5], v[144:145], v[4:5]
	s_waitcnt vmcnt(6)
	v_add_f64 v[14:15], v[14:15], v[184:185]
	s_waitcnt vmcnt(4)
	v_add_f64 v[32:33], v[126:127], -v[32:33]
	s_waitcnt vmcnt(2)
	v_add_f64 v[18:19], v[18:19], v[132:133]
	s_waitcnt vmcnt(0)
	v_add_f64 v[22:23], v[56:57], v[22:23]
	buffer_load_dword v56, off, s[64:67], 0 offset:408 ; 4-byte Folded Reload
	buffer_load_dword v57, off, s[64:67], 0 offset:412 ; 4-byte Folded Reload
	;; [unrolled: 1-line block ×4, first 2 shown]
	v_add_f64 v[14:15], v[14:15], v[16:17]
	v_add_f64 v[12:13], v[32:33], v[12:13]
	;; [unrolled: 1-line block ×3, first 2 shown]
	s_waitcnt vmcnt(2)
	v_add_f64 v[4:5], v[4:5], v[56:57]
	buffer_load_dword v56, off, s[64:67], 0 offset:752 ; 4-byte Folded Reload
	buffer_load_dword v57, off, s[64:67], 0 offset:756 ; 4-byte Folded Reload
	s_waitcnt vmcnt(2)
	v_add_f64 v[36:37], v[188:189], -v[36:37]
	s_waitcnt vmcnt(0)
	v_add_f64 v[56:57], v[134:135], -v[56:57]
	buffer_load_dword v132, off, s[64:67], 0 offset:832 ; 4-byte Folded Reload
	buffer_load_dword v133, off, s[64:67], 0 offset:836 ; 4-byte Folded Reload
	buffer_load_dword v134, off, s[64:67], 0 offset:840 ; 4-byte Folded Reload
	buffer_load_dword v135, off, s[64:67], 0 offset:844 ; 4-byte Folded Reload
	buffer_load_dword v32, off, s[64:67], 0 offset:736 ; 4-byte Folded Reload
	buffer_load_dword v33, off, s[64:67], 0 offset:740 ; 4-byte Folded Reload
	v_add_f64 v[12:13], v[56:57], v[12:13]
	v_add_f64 v[12:13], v[36:37], v[12:13]
	s_waitcnt vmcnt(0)
	v_add_f64 v[32:33], v[32:33], v[146:147]
	v_mov_b32_e32 v144, v148
	v_mov_b32_e32 v145, v149
	v_mov_b32_e32 v146, v150
	v_mov_b32_e32 v147, v151
	v_mov_b32_e32 v148, v152
	v_mov_b32_e32 v149, v153
	v_mov_b32_e32 v150, v154
	v_mov_b32_e32 v151, v155
	v_mov_b32_e32 v152, v156
	v_mov_b32_e32 v153, v157
	v_mov_b32_e32 v154, v158
	v_mov_b32_e32 v155, v159
	v_mov_b32_e32 v156, v160
	v_mov_b32_e32 v157, v161
	v_mov_b32_e32 v158, v162
	v_mov_b32_e32 v159, v163
	v_mov_b32_e32 v163, v55
	v_mov_b32_e32 v162, v54
	v_mov_b32_e32 v161, v53
	v_mov_b32_e32 v160, v52
	buffer_load_dword v52, off, s[64:67], 0 offset:448 ; 4-byte Folded Reload
	buffer_load_dword v53, off, s[64:67], 0 offset:452 ; 4-byte Folded Reload
	s_waitcnt vmcnt(0)
	v_add_f64 v[48:49], v[52:53], v[48:49]
	buffer_load_dword v52, off, s[64:67], 0 offset:400 ; 4-byte Folded Reload
	buffer_load_dword v53, off, s[64:67], 0 offset:404 ; 4-byte Folded Reload
	v_add_f64 v[48:49], v[182:183], v[48:49]
	s_waitcnt vmcnt(0)
	v_add_f64 v[22:23], v[22:23], v[52:53]
	buffer_load_dword v52, off, s[64:67], 0 offset:392 ; 4-byte Folded Reload
	buffer_load_dword v53, off, s[64:67], 0 offset:396 ; 4-byte Folded Reload
	buffer_load_dword v18, off, s[64:67], 0 offset:424 ; 4-byte Folded Reload
	buffer_load_dword v19, off, s[64:67], 0 offset:428 ; 4-byte Folded Reload
	s_waitcnt vmcnt(2)
	v_add_f64 v[4:5], v[4:5], v[52:53]
	s_waitcnt vmcnt(0)
	v_add_f64 v[18:19], v[46:47], -v[18:19]
	buffer_load_dword v46, off, s[64:67], 0 offset:432 ; 4-byte Folded Reload
	buffer_load_dword v47, off, s[64:67], 0 offset:436 ; 4-byte Folded Reload
	v_add_f64 v[18:19], v[180:181], v[18:19]
	s_waitcnt vmcnt(0)
	v_add_f64 v[24:25], v[24:25], -v[46:47]
	buffer_load_dword v46, off, s[64:67], 0 offset:552 ; 4-byte Folded Reload
	buffer_load_dword v47, off, s[64:67], 0 offset:556 ; 4-byte Folded Reload
	;; [unrolled: 1-line block ×4, first 2 shown]
	v_add_f64 v[24:25], v[180:181], v[24:25]
	s_waitcnt vmcnt(2)
	v_add_f64 v[46:47], v[58:59], -v[46:47]
	s_waitcnt vmcnt(0)
	v_add_f64 v[50:51], v[52:53], v[50:51]
	buffer_load_dword v52, off, s[64:67], 0 offset:384 ; 4-byte Folded Reload
	buffer_load_dword v53, off, s[64:67], 0 offset:388 ; 4-byte Folded Reload
	v_add_f64 v[24:25], v[46:47], v[24:25]
	v_add_f64 v[48:49], v[50:51], v[48:49]
	s_waitcnt vmcnt(0)
	v_add_f64 v[22:23], v[22:23], v[52:53]
	buffer_load_dword v52, off, s[64:67], 0 offset:376 ; 4-byte Folded Reload
	buffer_load_dword v53, off, s[64:67], 0 offset:380 ; 4-byte Folded Reload
	s_waitcnt vmcnt(0)
	v_add_f64 v[4:5], v[4:5], v[52:53]
	buffer_load_dword v52, off, s[64:67], 0 offset:456 ; 4-byte Folded Reload
	buffer_load_dword v53, off, s[64:67], 0 offset:460 ; 4-byte Folded Reload
	s_waitcnt vmcnt(0)
	v_add_f64 v[26:27], v[26:27], -v[52:53]
	buffer_load_dword v52, off, s[64:67], 0 offset:632 ; 4-byte Folded Reload
	buffer_load_dword v53, off, s[64:67], 0 offset:636 ; 4-byte Folded Reload
	v_add_f64 v[18:19], v[26:27], v[18:19]
	s_waitcnt vmcnt(0)
	v_add_f64 v[40:41], v[40:41], -v[52:53]
	buffer_load_dword v52, off, s[64:67], 0 offset:584 ; 4-byte Folded Reload
	buffer_load_dword v53, off, s[64:67], 0 offset:588 ; 4-byte Folded Reload
	;; [unrolled: 1-line block ×4, first 2 shown]
	v_add_f64 v[24:25], v[40:41], v[24:25]
	s_waitcnt vmcnt(2)
	v_add_f64 v[42:43], v[52:53], v[42:43]
	s_waitcnt vmcnt(0)
	v_add_f64 v[22:23], v[22:23], v[50:51]
	buffer_load_dword v50, off, s[64:67], 0 offset:360 ; 4-byte Folded Reload
	buffer_load_dword v51, off, s[64:67], 0 offset:364 ; 4-byte Folded Reload
	buffer_load_dword v26, off, s[64:67], 0 offset:712 ; 4-byte Folded Reload
	buffer_load_dword v27, off, s[64:67], 0 offset:716 ; 4-byte Folded Reload
	v_add_f64 v[42:43], v[42:43], v[48:49]
	s_waitcnt vmcnt(2)
	v_add_f64 v[4:5], v[4:5], v[50:51]
	s_waitcnt vmcnt(0)
	v_add_f64 v[26:27], v[30:31], -v[26:27]
	buffer_load_dword v30, off, s[64:67], 0 offset:608 ; 4-byte Folded Reload
	buffer_load_dword v31, off, s[64:67], 0 offset:612 ; 4-byte Folded Reload
	;; [unrolled: 1-line block ×4, first 2 shown]
	v_add_f64 v[50:51], v[62:63], -v[166:167]
	v_add_f64 v[24:25], v[26:27], v[24:25]
	v_add_f64 v[18:19], v[50:51], v[18:19]
	s_waitcnt vmcnt(2)
	v_add_f64 v[30:31], v[30:31], v[66:67]
	s_waitcnt vmcnt(0)
	v_add_f64 v[22:23], v[22:23], v[46:47]
	buffer_load_dword v46, off, s[64:67], 0 offset:344 ; 4-byte Folded Reload
	buffer_load_dword v47, off, s[64:67], 0 offset:348 ; 4-byte Folded Reload
	v_add_f64 v[30:31], v[30:31], v[42:43]
	s_waitcnt vmcnt(0)
	v_add_f64 v[4:5], v[4:5], v[46:47]
	buffer_load_dword v46, off, s[64:67], 0 offset:600 ; 4-byte Folded Reload
	buffer_load_dword v47, off, s[64:67], 0 offset:604 ; 4-byte Folded Reload
	;; [unrolled: 1-line block ×4, first 2 shown]
	s_waitcnt vmcnt(2)
	v_add_f64 v[46:47], v[64:65], -v[46:47]
	s_waitcnt vmcnt(0)
	v_add_f64 v[38:39], v[38:39], -v[40:41]
	buffer_load_dword v40, off, s[64:67], 0 offset:624 ; 4-byte Folded Reload
	buffer_load_dword v41, off, s[64:67], 0 offset:628 ; 4-byte Folded Reload
	;; [unrolled: 1-line block ×4, first 2 shown]
	v_add_f64 v[18:19], v[46:47], v[18:19]
	s_waitcnt vmcnt(2)
	v_add_f64 v[40:41], v[40:41], v[68:69]
	s_waitcnt vmcnt(0)
	v_add_f64 v[22:23], v[22:23], v[42:43]
	buffer_load_dword v42, off, s[64:67], 0 offset:940 ; 4-byte Folded Reload
	buffer_load_dword v43, off, s[64:67], 0 offset:944 ; 4-byte Folded Reload
	v_add_f64 v[30:31], v[40:41], v[30:31]
	s_waitcnt vmcnt(0)
	v_add_f64 v[4:5], v[4:5], v[42:43]
	buffer_load_dword v42, off, s[64:67], 0 offset:616 ; 4-byte Folded Reload
	buffer_load_dword v43, off, s[64:67], 0 offset:620 ; 4-byte Folded Reload
	;; [unrolled: 1-line block ×4, first 2 shown]
	s_waitcnt vmcnt(2)
	v_add_f64 v[20:21], v[20:21], -v[42:43]
	s_waitcnt vmcnt(0)
	v_add_f64 v[26:27], v[124:125], -v[26:27]
	buffer_load_dword v124, off, s[64:67], 0 offset:816 ; 4-byte Folded Reload
	buffer_load_dword v125, off, s[64:67], 0 offset:820 ; 4-byte Folded Reload
	;; [unrolled: 1-line block ×6, first 2 shown]
	v_add_f64 v[18:19], v[20:21], v[18:19]
	v_add_f64 v[20:21], v[38:39], v[24:25]
	;; [unrolled: 1-line block ×3, first 2 shown]
	s_waitcnt vmcnt(0)
	v_add_f64 v[42:43], v[42:43], v[122:123]
	buffer_load_dword v120, off, s[64:67], 0 offset:800 ; 4-byte Folded Reload
	buffer_load_dword v121, off, s[64:67], 0 offset:804 ; 4-byte Folded Reload
	;; [unrolled: 1-line block ×6, first 2 shown]
	v_add_f64 v[30:31], v[42:43], v[30:31]
	s_waitcnt vmcnt(0)
	v_add_f64 v[22:23], v[22:23], v[40:41]
	buffer_load_dword v40, off, s[64:67], 0 offset:916 ; 4-byte Folded Reload
	buffer_load_dword v41, off, s[64:67], 0 offset:920 ; 4-byte Folded Reload
	s_waitcnt vmcnt(0)
	v_add_f64 v[4:5], v[4:5], v[40:41]
	buffer_load_dword v40, off, s[64:67], 0 offset:640 ; 4-byte Folded Reload
	buffer_load_dword v41, off, s[64:67], 0 offset:644 ; 4-byte Folded Reload
	s_waitcnt vmcnt(0)
	v_add_f64 v[40:41], v[116:117], -v[40:41]
	buffer_load_dword v117, off, s[64:67], 0 offset:864 ; 4-byte Folded Reload
	buffer_load_dword v116, off, s[64:67], 0 offset:4 ; 4-byte Folded Reload
	;; [unrolled: 1-line block ×8, first 2 shown]
	v_add_f64 v[18:19], v[40:41], v[18:19]
	s_waitcnt vmcnt(4)
	v_add_f64 v[24:25], v[60:61], -v[24:25]
	s_waitcnt vmcnt(2)
	v_add_f64 v[38:39], v[38:39], v[130:131]
	s_waitcnt vmcnt(0)
	v_add_f64 v[22:23], v[22:23], v[42:43]
	buffer_load_dword v42, off, s[64:67], 0 offset:948 ; 4-byte Folded Reload
	buffer_load_dword v43, off, s[64:67], 0 offset:952 ; 4-byte Folded Reload
	v_add_f64 v[46:47], v[24:25], v[20:21]
	v_add_f64 v[30:31], v[38:39], v[30:31]
	s_waitcnt vmcnt(0)
	v_add_f64 v[4:5], v[4:5], v[42:43]
	buffer_load_dword v42, off, s[64:67], 0 offset:656 ; 4-byte Folded Reload
	buffer_load_dword v43, off, s[64:67], 0 offset:660 ; 4-byte Folded Reload
	;; [unrolled: 1-line block ×4, first 2 shown]
	s_waitcnt vmcnt(2)
	v_add_f64 v[42:43], v[128:129], -v[42:43]
	s_waitcnt vmcnt(0)
	v_add_f64 v[40:41], v[142:143], -v[26:27]
	buffer_load_dword v26, off, s[64:67], 0 offset:680 ; 4-byte Folded Reload
	buffer_load_dword v27, off, s[64:67], 0 offset:684 ; 4-byte Folded Reload
	;; [unrolled: 1-line block ×8, first 2 shown]
	v_add_f64 v[42:43], v[42:43], v[18:19]
	v_add_f64 v[18:19], v[32:33], v[8:9]
	;; [unrolled: 1-line block ×3, first 2 shown]
	s_waitcnt vmcnt(6)
	v_add_f64 v[26:27], v[26:27], v[140:141]
	s_waitcnt vmcnt(0)
	v_add_f64 v[22:23], v[22:23], v[38:39]
	buffer_load_dword v38, off, s[64:67], 0 offset:996 ; 4-byte Folded Reload
	buffer_load_dword v39, off, s[64:67], 0 offset:1000 ; 4-byte Folded Reload
	v_add_f64 v[26:27], v[26:27], v[30:31]
	s_waitcnt vmcnt(0)
	v_add_f64 v[4:5], v[4:5], v[38:39]
	buffer_load_dword v38, off, s[64:67], 0 offset:672 ; 4-byte Folded Reload
	buffer_load_dword v39, off, s[64:67], 0 offset:676 ; 4-byte Folded Reload
	;; [unrolled: 1-line block ×4, first 2 shown]
	s_waitcnt vmcnt(2)
	v_add_f64 v[38:39], v[136:137], -v[38:39]
	s_waitcnt vmcnt(0)
	v_add_f64 v[22:23], v[22:23], v[8:9]
	buffer_load_dword v8, off, s[64:67], 0 offset:892 ; 4-byte Folded Reload
	buffer_load_dword v9, off, s[64:67], 0 offset:896 ; 4-byte Folded Reload
	v_add_f64 v[24:25], v[38:39], v[42:43]
	s_waitcnt vmcnt(0)
	v_add_f64 v[20:21], v[4:5], v[8:9]
	v_add_f64 v[4:5], v[138:139], v[0:1]
	buffer_load_dword v136, off, s[64:67], 0 offset:848 ; 4-byte Folded Reload
	buffer_load_dword v137, off, s[64:67], 0 offset:852 ; 4-byte Folded Reload
	;; [unrolled: 1-line block ×4, first 2 shown]
	v_add_f64 v[8:9], v[28:29], v[34:35]
	v_add_f64 v[0:1], v[186:187], v[44:45]
	ds_write_b128 v255, v[20:23]
	buffer_load_dword v20, off, s[64:67], 0 ; 4-byte Folded Reload
	s_waitcnt vmcnt(0)
	v_lshl_add_u32 v20, v20, 4, v116
	ds_write_b128 v20, v[24:27] offset:832
	ds_write_b128 v20, v[16:19] offset:1664
	;; [unrolled: 1-line block ×7, first 2 shown]
	buffer_load_dword v4, off, s[64:67], 0 offset:964 ; 4-byte Folded Reload
	buffer_load_dword v5, off, s[64:67], 0 offset:968 ; 4-byte Folded Reload
	buffer_load_dword v6, off, s[64:67], 0 offset:972 ; 4-byte Folded Reload
	buffer_load_dword v7, off, s[64:67], 0 offset:976 ; 4-byte Folded Reload
	s_waitcnt vmcnt(0)
	ds_write_b128 v20, v[4:7] offset:6656
	buffer_load_dword v4, off, s[64:67], 0 offset:900 ; 4-byte Folded Reload
	buffer_load_dword v5, off, s[64:67], 0 offset:904 ; 4-byte Folded Reload
	buffer_load_dword v6, off, s[64:67], 0 offset:908 ; 4-byte Folded Reload
	buffer_load_dword v7, off, s[64:67], 0 offset:912 ; 4-byte Folded Reload
	s_waitcnt vmcnt(0)
	ds_write_b128 v20, v[4:7] offset:7488
	;; [unrolled: 6-line block ×3, first 2 shown]
	ds_write_b128 v20, v[200:203] offset:9152
	ds_write_b128 v20, v[0:3] offset:9984
	ds_write_b128 v20, v[176:179] offset:10816
	ds_write_b128 v20, v[172:175] offset:11648
	ds_write_b128 v20, v[168:171] offset:12480
	ds_write_b128 v20, v[164:167] offset:13312
.LBB0_9:
	s_or_b64 exec, exec, s[34:35]
	v_mov_b32_e32 v0, s13
	v_addc_co_u32_e32 v14, vcc, 0, v0, vcc
	s_movk_i32 s4, 0x3740
	v_add_co_u32_e32 v12, vcc, s4, v250
	v_addc_co_u32_e32 v13, vcc, 0, v14, vcc
	s_movk_i32 s4, 0x3000
	v_add_co_u32_e32 v4, vcc, s4, v250
	v_addc_co_u32_e32 v5, vcc, 0, v14, vcc
	s_waitcnt vmcnt(0) lgkmcnt(0)
	s_barrier
	global_load_dwordx4 v[4:7], v[4:5], off offset:1856
	ds_read_b128 v[0:3], v255
	s_movk_i32 s4, 0x4000
	s_mov_b32 s22, 0x4267c47c
	s_mov_b32 s14, 0x66966769
	;; [unrolled: 1-line block ×33, first 2 shown]
	s_waitcnt vmcnt(0) lgkmcnt(0)
	v_mul_f64 v[8:9], v[2:3], v[6:7]
	v_fma_f64 v[8:9], v[0:1], v[4:5], -v[8:9]
	v_mul_f64 v[0:1], v[0:1], v[6:7]
	v_fma_f64 v[10:11], v[2:3], v[4:5], v[0:1]
	global_load_dwordx4 v[4:7], v[12:13], off offset:1088
	ds_read_b128 v[0:3], v255 offset:1088
	ds_write_b128 v255, v[8:11]
	s_waitcnt vmcnt(0) lgkmcnt(1)
	v_mul_f64 v[8:9], v[2:3], v[6:7]
	v_fma_f64 v[8:9], v[0:1], v[4:5], -v[8:9]
	v_mul_f64 v[0:1], v[0:1], v[6:7]
	v_fma_f64 v[10:11], v[2:3], v[4:5], v[0:1]
	global_load_dwordx4 v[4:7], v[12:13], off offset:2176
	ds_read_b128 v[0:3], v255 offset:2176
	ds_write_b128 v255, v[8:11] offset:1088
	s_waitcnt vmcnt(0) lgkmcnt(1)
	v_mul_f64 v[8:9], v[2:3], v[6:7]
	v_fma_f64 v[8:9], v[0:1], v[4:5], -v[8:9]
	v_mul_f64 v[0:1], v[0:1], v[6:7]
	v_fma_f64 v[10:11], v[2:3], v[4:5], v[0:1]
	buffer_load_dword v0, off, s[64:67], 0  ; 4-byte Folded Reload
	global_load_dwordx4 v[4:7], v[12:13], off offset:3264
	v_add_co_u32_e32 v12, vcc, s4, v250
	v_addc_co_u32_e32 v13, vcc, 0, v14, vcc
	s_movk_i32 s4, 0x5000
	ds_write_b128 v255, v[8:11] offset:2176
	s_waitcnt vmcnt(1)
	v_lshl_add_u32 v233, v0, 4, v116
	ds_read_b128 v[0:3], v233 offset:3264
	s_waitcnt vmcnt(0) lgkmcnt(0)
	v_mul_f64 v[8:9], v[2:3], v[6:7]
	v_fma_f64 v[8:9], v[0:1], v[4:5], -v[8:9]
	v_mul_f64 v[0:1], v[0:1], v[6:7]
	v_fma_f64 v[10:11], v[2:3], v[4:5], v[0:1]
	global_load_dwordx4 v[4:7], v[12:13], off offset:2112
	ds_read_b128 v[0:3], v255 offset:4352
	ds_write_b128 v233, v[8:11] offset:3264
	s_waitcnt vmcnt(0) lgkmcnt(1)
	v_mul_f64 v[8:9], v[2:3], v[6:7]
	v_fma_f64 v[8:9], v[0:1], v[4:5], -v[8:9]
	v_mul_f64 v[0:1], v[0:1], v[6:7]
	v_fma_f64 v[10:11], v[2:3], v[4:5], v[0:1]
	global_load_dwordx4 v[4:7], v[12:13], off offset:3200
	ds_read_b128 v[0:3], v255 offset:5440
	v_add_co_u32_e32 v12, vcc, s4, v250
	v_addc_co_u32_e32 v13, vcc, 0, v14, vcc
	s_movk_i32 s4, 0x6000
	ds_write_b128 v255, v[8:11] offset:4352
	s_waitcnt vmcnt(0) lgkmcnt(1)
	v_mul_f64 v[8:9], v[2:3], v[6:7]
	v_fma_f64 v[8:9], v[0:1], v[4:5], -v[8:9]
	v_mul_f64 v[0:1], v[0:1], v[6:7]
	v_fma_f64 v[10:11], v[2:3], v[4:5], v[0:1]
	global_load_dwordx4 v[4:7], v[12:13], off offset:192
	ds_read_b128 v[0:3], v255 offset:6528
	ds_write_b128 v255, v[8:11] offset:5440
	s_waitcnt vmcnt(0) lgkmcnt(1)
	v_mul_f64 v[8:9], v[2:3], v[6:7]
	v_fma_f64 v[8:9], v[0:1], v[4:5], -v[8:9]
	v_mul_f64 v[0:1], v[0:1], v[6:7]
	v_fma_f64 v[10:11], v[2:3], v[4:5], v[0:1]
	global_load_dwordx4 v[4:7], v[12:13], off offset:1280
	ds_read_b128 v[0:3], v255 offset:7616
	;; [unrolled: 8-line block ×4, first 2 shown]
	v_add_co_u32_e32 v12, vcc, s4, v250
	v_addc_co_u32_e32 v13, vcc, 0, v14, vcc
	s_mov_b32 s4, 0x42a4c3d2
	ds_write_b128 v255, v[8:11] offset:8704
	s_mov_b32 s5, 0xbfea55e2
	s_mov_b32 s18, s4
	s_waitcnt vmcnt(0) lgkmcnt(1)
	v_mul_f64 v[8:9], v[2:3], v[6:7]
	v_fma_f64 v[8:9], v[0:1], v[4:5], -v[8:9]
	v_mul_f64 v[0:1], v[0:1], v[6:7]
	v_fma_f64 v[10:11], v[2:3], v[4:5], v[0:1]
	global_load_dwordx4 v[4:7], v[12:13], off offset:448
	ds_read_b128 v[0:3], v255 offset:10880
	ds_write_b128 v255, v[8:11] offset:9792
	s_waitcnt vmcnt(0) lgkmcnt(1)
	v_mul_f64 v[8:9], v[2:3], v[6:7]
	v_fma_f64 v[8:9], v[0:1], v[4:5], -v[8:9]
	v_mul_f64 v[0:1], v[0:1], v[6:7]
	v_fma_f64 v[10:11], v[2:3], v[4:5], v[0:1]
	global_load_dwordx4 v[4:7], v[12:13], off offset:1536
	ds_read_b128 v[0:3], v255 offset:11968
	ds_write_b128 v255, v[8:11] offset:10880
	;; [unrolled: 8-line block ×3, first 2 shown]
	s_waitcnt vmcnt(0) lgkmcnt(1)
	v_mul_f64 v[8:9], v[2:3], v[6:7]
	v_fma_f64 v[8:9], v[0:1], v[4:5], -v[8:9]
	v_mul_f64 v[0:1], v[0:1], v[6:7]
	v_fma_f64 v[10:11], v[2:3], v[4:5], v[0:1]
	ds_write_b128 v255, v[8:11] offset:13056
	s_waitcnt lgkmcnt(0)
	s_barrier
	ds_read_b128 v[224:227], v255
	ds_read_b128 v[0:3], v255 offset:1088
	ds_read_b128 v[216:219], v255 offset:2176
	ds_read_b128 v[208:211], v233 offset:3264
	ds_read_b128 v[200:203], v255 offset:4352
	ds_read_b128 v[192:195], v255 offset:5440
	ds_read_b128 v[184:187], v255 offset:6528
	ds_read_b128 v[188:191], v255 offset:7616
	ds_read_b128 v[196:199], v255 offset:8704
	ds_read_b128 v[204:207], v255 offset:9792
	ds_read_b128 v[212:215], v255 offset:10880
	ds_read_b128 v[220:223], v255 offset:11968
	ds_read_b128 v[4:7], v255 offset:13056
	s_waitcnt lgkmcnt(11)
	v_add_f64 v[10:11], v[226:227], v[2:3]
	v_add_f64 v[8:9], v[224:225], v[0:1]
	s_waitcnt lgkmcnt(5)
	v_add_f64 v[66:67], v[186:187], -v[190:191]
	s_waitcnt lgkmcnt(1)
	v_add_f64 v[58:59], v[218:219], -v[222:223]
	v_add_f64 v[56:57], v[216:217], -v[220:221]
	s_waitcnt lgkmcnt(0)
	s_barrier
	v_add_f64 v[10:11], v[10:11], v[218:219]
	v_add_f64 v[8:9], v[8:9], v[216:217]
	v_mul_f64 v[60:61], v[58:59], s[4:5]
	v_add_f64 v[10:11], v[10:11], v[210:211]
	v_add_f64 v[8:9], v[8:9], v[208:209]
	;; [unrolled: 1-line block ×20, first 2 shown]
	v_add_f64 v[2:3], v[2:3], -v[6:7]
	v_add_f64 v[180:181], v[8:9], v[4:5]
	v_add_f64 v[8:9], v[0:1], v[4:5]
	v_add_f64 v[0:1], v[0:1], -v[4:5]
	v_mul_f64 v[12:13], v[10:11], s[24:25]
	v_mul_f64 v[4:5], v[2:3], s[22:23]
	;; [unrolled: 1-line block ×9, first 2 shown]
	v_fma_f64 v[6:7], v[8:9], s[24:25], v[4:5]
	v_fma_f64 v[4:5], v[8:9], s[24:25], -v[4:5]
	v_fma_f64 v[18:19], v[8:9], s[12:13], v[16:17]
	v_fma_f64 v[16:17], v[8:9], s[12:13], -v[16:17]
	;; [unrolled: 2-line block ×3, first 2 shown]
	v_fma_f64 v[34:35], v[8:9], s[30:31], v[32:33]
	v_mul_f64 v[36:37], v[10:11], s[30:31]
	v_fma_f64 v[32:33], v[8:9], s[30:31], -v[32:33]
	v_fma_f64 v[42:43], v[8:9], s[38:39], v[40:41]
	v_mul_f64 v[44:45], v[10:11], s[38:39]
	v_fma_f64 v[40:41], v[8:9], s[38:39], -v[40:41]
	;; [unrolled: 3-line block ×3, first 2 shown]
	v_add_f64 v[8:9], v[216:217], v[220:221]
	v_add_f64 v[6:7], v[224:225], v[6:7]
	v_fma_f64 v[14:15], v[0:1], s[26:27], v[12:13]
	v_fma_f64 v[12:13], v[0:1], s[22:23], v[12:13]
	;; [unrolled: 1-line block ×12, first 2 shown]
	v_add_f64 v[10:11], v[218:219], v[222:223]
	v_fma_f64 v[62:63], v[8:9], s[12:13], v[60:61]
	v_add_f64 v[4:5], v[224:225], v[4:5]
	v_fma_f64 v[60:61], v[8:9], s[12:13], -v[60:61]
	v_add_f64 v[12:13], v[226:227], v[12:13]
	v_add_f64 v[18:19], v[224:225], v[18:19]
	v_add_f64 v[16:17], v[224:225], v[16:17]
	v_add_f64 v[20:21], v[226:227], v[20:21]
	v_add_f64 v[14:15], v[226:227], v[14:15]
	v_add_f64 v[6:7], v[62:63], v[6:7]
	v_mul_f64 v[62:63], v[10:11], s[12:13]
	v_add_f64 v[4:5], v[60:61], v[4:5]
	v_add_f64 v[26:27], v[224:225], v[26:27]
	;; [unrolled: 1-line block ×7, first 2 shown]
	v_fma_f64 v[60:61], v[56:57], s[4:5], v[62:63]
	v_fma_f64 v[64:65], v[56:57], s[18:19], v[62:63]
	v_add_f64 v[36:37], v[226:227], v[36:37]
	v_add_f64 v[30:31], v[226:227], v[30:31]
	;; [unrolled: 1-line block ×7, first 2 shown]
	v_mul_f64 v[60:61], v[58:59], s[28:29]
	v_add_f64 v[14:15], v[64:65], v[14:15]
	v_add_f64 v[2:3], v[224:225], v[2:3]
	;; [unrolled: 1-line block ×6, first 2 shown]
	v_fma_f64 v[62:63], v[8:9], s[30:31], v[60:61]
	v_fma_f64 v[60:61], v[8:9], s[30:31], -v[60:61]
	v_add_f64 v[18:19], v[62:63], v[18:19]
	v_mul_f64 v[62:63], v[10:11], s[30:31]
	v_add_f64 v[16:17], v[60:61], v[16:17]
	v_fma_f64 v[60:61], v[56:57], s[28:29], v[62:63]
	v_fma_f64 v[64:65], v[56:57], s[34:35], v[62:63]
	v_add_f64 v[20:21], v[60:61], v[20:21]
	v_mul_f64 v[60:61], v[58:59], s[42:43]
	v_add_f64 v[22:23], v[64:65], v[22:23]
	v_fma_f64 v[62:63], v[8:9], s[44:45], v[60:61]
	v_fma_f64 v[60:61], v[8:9], s[44:45], -v[60:61]
	v_add_f64 v[26:27], v[62:63], v[26:27]
	v_mul_f64 v[62:63], v[10:11], s[44:45]
	v_add_f64 v[24:25], v[60:61], v[24:25]
	v_fma_f64 v[60:61], v[56:57], s[42:43], v[62:63]
	v_fma_f64 v[64:65], v[56:57], s[46:47], v[62:63]
	v_add_f64 v[28:29], v[60:61], v[28:29]
	v_mul_f64 v[60:61], v[58:59], s[40:41]
	v_add_f64 v[30:31], v[64:65], v[30:31]
	v_fma_f64 v[62:63], v[8:9], s[38:39], v[60:61]
	v_fma_f64 v[60:61], v[8:9], s[38:39], -v[60:61]
	v_add_f64 v[34:35], v[62:63], v[34:35]
	v_mul_f64 v[62:63], v[10:11], s[38:39]
	v_add_f64 v[32:33], v[60:61], v[32:33]
	v_fma_f64 v[60:61], v[56:57], s[40:41], v[62:63]
	v_fma_f64 v[64:65], v[56:57], s[36:37], v[62:63]
	v_add_f64 v[36:37], v[60:61], v[36:37]
	v_mul_f64 v[60:61], v[58:59], s[20:21]
	v_mul_f64 v[58:59], v[58:59], s[26:27]
	v_add_f64 v[38:39], v[64:65], v[38:39]
	v_fma_f64 v[62:63], v[8:9], s[16:17], v[60:61]
	v_fma_f64 v[60:61], v[8:9], s[16:17], -v[60:61]
	v_add_f64 v[42:43], v[62:63], v[42:43]
	v_mul_f64 v[62:63], v[10:11], s[16:17]
	v_add_f64 v[40:41], v[60:61], v[40:41]
	v_mul_f64 v[10:11], v[10:11], s[24:25]
	v_fma_f64 v[60:61], v[56:57], s[20:21], v[62:63]
	v_fma_f64 v[64:65], v[56:57], s[14:15], v[62:63]
	v_add_f64 v[44:45], v[60:61], v[44:45]
	v_fma_f64 v[60:61], v[8:9], s[24:25], v[58:59]
	v_fma_f64 v[8:9], v[8:9], s[24:25], -v[58:59]
	v_add_f64 v[58:59], v[210:211], -v[214:215]
	v_add_f64 v[46:47], v[64:65], v[46:47]
	v_add_f64 v[48:49], v[60:61], v[48:49]
	v_fma_f64 v[60:61], v[56:57], s[22:23], v[10:11]
	v_add_f64 v[2:3], v[8:9], v[2:3]
	v_fma_f64 v[8:9], v[56:57], s[26:27], v[10:11]
	v_add_f64 v[10:11], v[210:211], v[214:215]
	v_add_f64 v[56:57], v[208:209], -v[212:213]
	v_add_f64 v[50:51], v[60:61], v[50:51]
	v_mul_f64 v[60:61], v[58:59], s[14:15]
	v_add_f64 v[0:1], v[8:9], v[0:1]
	v_add_f64 v[8:9], v[208:209], v[212:213]
	v_fma_f64 v[62:63], v[8:9], s[16:17], v[60:61]
	v_fma_f64 v[60:61], v[8:9], s[16:17], -v[60:61]
	v_add_f64 v[6:7], v[62:63], v[6:7]
	v_mul_f64 v[62:63], v[10:11], s[16:17]
	v_add_f64 v[4:5], v[60:61], v[4:5]
	v_fma_f64 v[60:61], v[56:57], s[14:15], v[62:63]
	v_fma_f64 v[64:65], v[56:57], s[20:21], v[62:63]
	v_add_f64 v[12:13], v[60:61], v[12:13]
	v_mul_f64 v[60:61], v[58:59], s[42:43]
	v_add_f64 v[14:15], v[64:65], v[14:15]
	v_fma_f64 v[62:63], v[8:9], s[44:45], v[60:61]
	v_fma_f64 v[60:61], v[8:9], s[44:45], -v[60:61]
	v_add_f64 v[18:19], v[62:63], v[18:19]
	v_mul_f64 v[62:63], v[10:11], s[44:45]
	v_add_f64 v[16:17], v[60:61], v[16:17]
	v_fma_f64 v[60:61], v[56:57], s[42:43], v[62:63]
	v_fma_f64 v[64:65], v[56:57], s[46:47], v[62:63]
	v_add_f64 v[20:21], v[60:61], v[20:21]
	v_mul_f64 v[60:61], v[58:59], s[34:35]
	v_add_f64 v[22:23], v[64:65], v[22:23]
	v_fma_f64 v[62:63], v[8:9], s[30:31], v[60:61]
	v_fma_f64 v[60:61], v[8:9], s[30:31], -v[60:61]
	v_add_f64 v[26:27], v[62:63], v[26:27]
	v_mul_f64 v[62:63], v[10:11], s[30:31]
	v_add_f64 v[24:25], v[60:61], v[24:25]
	v_fma_f64 v[60:61], v[56:57], s[34:35], v[62:63]
	v_fma_f64 v[64:65], v[56:57], s[28:29], v[62:63]
	v_add_f64 v[28:29], v[60:61], v[28:29]
	v_mul_f64 v[60:61], v[58:59], s[26:27]
	v_add_f64 v[30:31], v[64:65], v[30:31]
	v_fma_f64 v[62:63], v[8:9], s[24:25], v[60:61]
	v_fma_f64 v[60:61], v[8:9], s[24:25], -v[60:61]
	v_add_f64 v[34:35], v[62:63], v[34:35]
	v_mul_f64 v[62:63], v[10:11], s[24:25]
	v_add_f64 v[32:33], v[60:61], v[32:33]
	v_fma_f64 v[60:61], v[56:57], s[26:27], v[62:63]
	v_fma_f64 v[64:65], v[56:57], s[22:23], v[62:63]
	v_add_f64 v[36:37], v[60:61], v[36:37]
	v_mul_f64 v[60:61], v[58:59], s[4:5]
	v_mul_f64 v[58:59], v[58:59], s[36:37]
	v_add_f64 v[38:39], v[64:65], v[38:39]
	v_fma_f64 v[62:63], v[8:9], s[12:13], v[60:61]
	v_fma_f64 v[60:61], v[8:9], s[12:13], -v[60:61]
	v_add_f64 v[42:43], v[62:63], v[42:43]
	v_mul_f64 v[62:63], v[10:11], s[12:13]
	v_add_f64 v[40:41], v[60:61], v[40:41]
	v_mul_f64 v[10:11], v[10:11], s[38:39]
	v_fma_f64 v[60:61], v[56:57], s[4:5], v[62:63]
	v_fma_f64 v[64:65], v[56:57], s[18:19], v[62:63]
	v_add_f64 v[44:45], v[60:61], v[44:45]
	v_fma_f64 v[60:61], v[8:9], s[38:39], v[58:59]
	v_fma_f64 v[8:9], v[8:9], s[38:39], -v[58:59]
	v_add_f64 v[58:59], v[202:203], -v[206:207]
	v_add_f64 v[46:47], v[64:65], v[46:47]
	v_add_f64 v[48:49], v[60:61], v[48:49]
	v_fma_f64 v[60:61], v[56:57], s[40:41], v[10:11]
	v_add_f64 v[2:3], v[8:9], v[2:3]
	v_fma_f64 v[8:9], v[56:57], s[36:37], v[10:11]
	v_add_f64 v[10:11], v[202:203], v[206:207]
	v_add_f64 v[56:57], v[200:201], -v[204:205]
	v_add_f64 v[50:51], v[60:61], v[50:51]
	v_mul_f64 v[60:61], v[58:59], s[28:29]
	v_add_f64 v[0:1], v[8:9], v[0:1]
	v_add_f64 v[8:9], v[200:201], v[204:205]
	v_fma_f64 v[62:63], v[8:9], s[30:31], v[60:61]
	v_fma_f64 v[60:61], v[8:9], s[30:31], -v[60:61]
	v_add_f64 v[6:7], v[62:63], v[6:7]
	v_mul_f64 v[62:63], v[10:11], s[30:31]
	v_add_f64 v[4:5], v[60:61], v[4:5]
	v_fma_f64 v[60:61], v[56:57], s[28:29], v[62:63]
	v_fma_f64 v[64:65], v[56:57], s[34:35], v[62:63]
	v_add_f64 v[12:13], v[60:61], v[12:13]
	v_mul_f64 v[60:61], v[58:59], s[40:41]
	v_add_f64 v[14:15], v[64:65], v[14:15]
	;; [unrolled: 64-line block ×3, first 2 shown]
	v_fma_f64 v[62:63], v[8:9], s[16:17], v[60:61]
	v_fma_f64 v[60:61], v[8:9], s[16:17], -v[60:61]
	v_add_f64 v[18:19], v[62:63], v[18:19]
	v_mul_f64 v[62:63], v[10:11], s[16:17]
	v_add_f64 v[16:17], v[60:61], v[16:17]
	v_fma_f64 v[60:61], v[56:57], s[20:21], v[62:63]
	v_fma_f64 v[64:65], v[56:57], s[14:15], v[62:63]
	v_add_f64 v[20:21], v[60:61], v[20:21]
	v_mul_f64 v[60:61], v[58:59], s[4:5]
	v_add_f64 v[22:23], v[64:65], v[22:23]
	v_fma_f64 v[62:63], v[8:9], s[12:13], v[60:61]
	v_fma_f64 v[60:61], v[8:9], s[12:13], -v[60:61]
	v_add_f64 v[26:27], v[62:63], v[26:27]
	v_mul_f64 v[62:63], v[10:11], s[12:13]
	v_add_f64 v[24:25], v[60:61], v[24:25]
	v_fma_f64 v[60:61], v[56:57], s[4:5], v[62:63]
	v_fma_f64 v[64:65], v[56:57], s[18:19], v[62:63]
	v_add_f64 v[28:29], v[60:61], v[28:29]
	v_mul_f64 v[60:61], v[58:59], s[46:47]
	v_add_f64 v[30:31], v[64:65], v[30:31]
	v_fma_f64 v[62:63], v[8:9], s[44:45], v[60:61]
	v_fma_f64 v[60:61], v[8:9], s[44:45], -v[60:61]
	v_add_f64 v[34:35], v[62:63], v[34:35]
	v_mul_f64 v[62:63], v[10:11], s[44:45]
	v_add_f64 v[32:33], v[60:61], v[32:33]
	v_fma_f64 v[60:61], v[56:57], s[46:47], v[62:63]
	v_fma_f64 v[64:65], v[56:57], s[42:43], v[62:63]
	v_add_f64 v[36:37], v[60:61], v[36:37]
	v_mul_f64 v[60:61], v[58:59], s[26:27]
	v_mul_f64 v[58:59], v[58:59], s[28:29]
	v_add_f64 v[38:39], v[64:65], v[38:39]
	v_fma_f64 v[62:63], v[8:9], s[24:25], v[60:61]
	v_fma_f64 v[60:61], v[8:9], s[24:25], -v[60:61]
	v_add_f64 v[42:43], v[62:63], v[42:43]
	v_mul_f64 v[62:63], v[10:11], s[24:25]
	v_add_f64 v[40:41], v[60:61], v[40:41]
	v_mul_f64 v[10:11], v[10:11], s[30:31]
	v_fma_f64 v[60:61], v[56:57], s[26:27], v[62:63]
	v_fma_f64 v[64:65], v[56:57], s[22:23], v[62:63]
	v_add_f64 v[62:63], v[186:187], v[190:191]
	v_add_f64 v[44:45], v[60:61], v[44:45]
	v_fma_f64 v[60:61], v[8:9], s[30:31], v[58:59]
	v_fma_f64 v[8:9], v[8:9], s[30:31], -v[58:59]
	v_add_f64 v[46:47], v[64:65], v[46:47]
	v_add_f64 v[64:65], v[184:185], -v[188:189]
	v_add_f64 v[48:49], v[60:61], v[48:49]
	v_fma_f64 v[60:61], v[56:57], s[34:35], v[10:11]
	v_add_f64 v[58:59], v[8:9], v[2:3]
	v_fma_f64 v[2:3], v[56:57], s[28:29], v[10:11]
	v_mul_f64 v[8:9], v[66:67], s[42:43]
	v_mul_f64 v[10:11], v[62:63], s[24:25]
	v_add_f64 v[50:51], v[60:61], v[50:51]
	v_add_f64 v[60:61], v[184:185], v[188:189]
	;; [unrolled: 1-line block ×3, first 2 shown]
	v_fma_f64 v[0:1], v[60:61], s[44:45], v[8:9]
	v_fma_f64 v[8:9], v[60:61], s[44:45], -v[8:9]
	v_add_f64 v[0:1], v[0:1], v[6:7]
	v_mul_f64 v[6:7], v[62:63], s[44:45]
	v_add_f64 v[184:185], v[8:9], v[4:5]
	v_mul_f64 v[8:9], v[66:67], s[26:27]
	v_fma_f64 v[4:5], v[64:65], s[42:43], v[6:7]
	v_fma_f64 v[2:3], v[64:65], s[46:47], v[6:7]
	;; [unrolled: 1-line block ×4, first 2 shown]
	v_add_f64 v[186:187], v[4:5], v[12:13]
	v_fma_f64 v[4:5], v[60:61], s[24:25], v[8:9]
	v_fma_f64 v[8:9], v[60:61], s[24:25], -v[8:9]
	v_add_f64 v[10:11], v[10:11], v[20:21]
	v_add_f64 v[2:3], v[2:3], v[14:15]
	;; [unrolled: 1-line block ×5, first 2 shown]
	v_mul_f64 v[16:17], v[66:67], s[36:37]
	v_mul_f64 v[18:19], v[62:63], s[38:39]
	v_fma_f64 v[12:13], v[60:61], s[38:39], v[16:17]
	v_fma_f64 v[16:17], v[60:61], s[38:39], -v[16:17]
	v_fma_f64 v[14:15], v[64:65], s[40:41], v[18:19]
	v_fma_f64 v[18:19], v[64:65], s[36:37], v[18:19]
	v_add_f64 v[12:13], v[12:13], v[26:27]
	v_add_f64 v[16:17], v[16:17], v[24:25]
	v_mul_f64 v[24:25], v[66:67], s[18:19]
	v_add_f64 v[18:19], v[18:19], v[28:29]
	v_mul_f64 v[26:27], v[62:63], s[12:13]
	v_add_f64 v[14:15], v[14:15], v[30:31]
	v_fma_f64 v[20:21], v[60:61], s[12:13], v[24:25]
	v_fma_f64 v[24:25], v[60:61], s[12:13], -v[24:25]
	v_fma_f64 v[22:23], v[64:65], s[4:5], v[26:27]
	v_fma_f64 v[26:27], v[64:65], s[18:19], v[26:27]
	v_add_f64 v[20:21], v[20:21], v[34:35]
	v_add_f64 v[24:25], v[24:25], v[32:33]
	v_mul_f64 v[32:33], v[66:67], s[28:29]
	v_mul_f64 v[34:35], v[62:63], s[30:31]
	v_add_f64 v[22:23], v[22:23], v[38:39]
	v_add_f64 v[26:27], v[26:27], v[36:37]
	v_fma_f64 v[28:29], v[60:61], s[30:31], v[32:33]
	v_fma_f64 v[32:33], v[60:61], s[30:31], -v[32:33]
	v_fma_f64 v[30:31], v[64:65], s[34:35], v[34:35]
	v_fma_f64 v[34:35], v[64:65], s[28:29], v[34:35]
	v_add_f64 v[28:29], v[28:29], v[42:43]
	v_add_f64 v[32:33], v[32:33], v[40:41]
	v_mul_f64 v[40:41], v[66:67], s[20:21]
	v_mul_f64 v[42:43], v[62:63], s[16:17]
	v_add_f64 v[30:31], v[30:31], v[46:47]
	v_add_f64 v[34:35], v[34:35], v[44:45]
	v_fma_f64 v[36:37], v[60:61], s[16:17], v[40:41]
	v_fma_f64 v[38:39], v[64:65], s[14:15], v[42:43]
	v_fma_f64 v[40:41], v[60:61], s[16:17], -v[40:41]
	v_fma_f64 v[42:43], v[64:65], s[20:21], v[42:43]
	v_add_f64 v[36:37], v[36:37], v[48:49]
	v_add_f64 v[38:39], v[38:39], v[50:51]
	;; [unrolled: 1-line block ×4, first 2 shown]
	ds_write_b128 v249, v[180:183]
	ds_write_b128 v249, v[0:3] offset:16
	ds_write_b128 v249, v[4:7] offset:32
	;; [unrolled: 1-line block ×12, first 2 shown]
	s_waitcnt lgkmcnt(0)
	s_barrier
	ds_read_b128 v[188:191], v255
	ds_read_b128 v[228:231], v255 offset:3536
	ds_read_b128 v[224:227], v255 offset:7072
	;; [unrolled: 1-line block ×11, first 2 shown]
	s_and_saveexec_b64 s[4:5], s[0:1]
	s_cbranch_execz .LBB0_11
; %bb.10:
	ds_read_b128 v[176:179], v255 offset:6800
	ds_read_b128 v[172:175], v255 offset:10336
	;; [unrolled: 1-line block ×4, first 2 shown]
.LBB0_11:
	s_or_b64 exec, exec, s[4:5]
	buffer_load_dword v52, off, s[64:67], 0 offset:224 ; 4-byte Folded Reload
	buffer_load_dword v53, off, s[64:67], 0 offset:228 ; 4-byte Folded Reload
	;; [unrolled: 1-line block ×4, first 2 shown]
	s_waitcnt lgkmcnt(10)
	v_mul_f64 v[0:1], v[98:99], v[230:231]
	v_mul_f64 v[2:3], v[98:99], v[228:229]
	s_waitcnt lgkmcnt(9)
	v_mul_f64 v[4:5], v[94:95], v[226:227]
	v_mul_f64 v[6:7], v[94:95], v[224:225]
	;; [unrolled: 3-line block ×4, first 2 shown]
	v_fma_f64 v[0:1], v[96:97], v[228:229], v[0:1]
	v_fma_f64 v[2:3], v[96:97], v[230:231], -v[2:3]
	v_fma_f64 v[4:5], v[92:93], v[224:225], v[4:5]
	v_fma_f64 v[6:7], v[92:93], v[226:227], -v[6:7]
	;; [unrolled: 2-line block ×3, first 2 shown]
	s_waitcnt lgkmcnt(5)
	v_mul_f64 v[16:17], v[82:83], v[214:215]
	v_mul_f64 v[18:19], v[82:83], v[212:213]
	s_waitcnt lgkmcnt(4)
	v_mul_f64 v[20:21], v[110:111], v[210:211]
	v_mul_f64 v[22:23], v[110:111], v[208:209]
	v_fma_f64 v[12:13], v[100:101], v[204:205], v[12:13]
	v_fma_f64 v[14:15], v[100:101], v[206:207], -v[14:15]
	v_add_f64 v[4:5], v[188:189], -v[4:5]
	v_add_f64 v[6:7], v[190:191], -v[6:7]
	v_fma_f64 v[16:17], v[80:81], v[212:213], v[16:17]
	v_fma_f64 v[18:19], v[80:81], v[214:215], -v[18:19]
	v_fma_f64 v[20:21], v[108:109], v[208:209], v[20:21]
	v_fma_f64 v[22:23], v[108:109], v[210:211], -v[22:23]
	v_add_f64 v[8:9], v[0:1], -v[8:9]
	v_add_f64 v[10:11], v[2:3], -v[10:11]
	s_waitcnt lgkmcnt(2)
	v_mul_f64 v[24:25], v[106:107], v[218:219]
	v_mul_f64 v[26:27], v[106:107], v[216:217]
	s_waitcnt lgkmcnt(1)
	v_mul_f64 v[28:29], v[90:91], v[198:199]
	v_mul_f64 v[30:31], v[90:91], v[196:197]
	;; [unrolled: 3-line block ×3, first 2 shown]
	v_mul_f64 v[36:37], v[78:79], v[178:179]
	v_mul_f64 v[38:39], v[78:79], v[176:177]
	;; [unrolled: 1-line block ×4, first 2 shown]
	v_add_f64 v[16:17], v[192:193], -v[16:17]
	v_add_f64 v[18:19], v[194:195], -v[18:19]
	;; [unrolled: 1-line block ×4, first 2 shown]
	v_fma_f64 v[44:45], v[188:189], 2.0, -v[4:5]
	v_fma_f64 v[46:47], v[190:191], 2.0, -v[6:7]
	;; [unrolled: 1-line block ×4, first 2 shown]
	v_fma_f64 v[24:25], v[104:105], v[216:217], v[24:25]
	v_fma_f64 v[26:27], v[104:105], v[218:219], -v[26:27]
	v_fma_f64 v[28:29], v[88:89], v[196:197], v[28:29]
	v_fma_f64 v[30:31], v[88:89], v[198:199], -v[30:31]
	;; [unrolled: 2-line block ×5, first 2 shown]
	v_fma_f64 v[48:49], v[192:193], 2.0, -v[16:17]
	v_fma_f64 v[50:51], v[194:195], 2.0, -v[18:19]
	;; [unrolled: 1-line block ×4, first 2 shown]
	v_add_f64 v[72:73], v[44:45], -v[0:1]
	v_add_f64 v[74:75], v[46:47], -v[2:3]
	v_add_f64 v[80:81], v[4:5], v[10:11]
	v_add_f64 v[82:83], v[6:7], -v[8:9]
	v_add_f64 v[8:9], v[24:25], -v[32:33]
	;; [unrolled: 1-line block ×7, first 2 shown]
	v_fma_f64 v[76:77], v[4:5], 2.0, -v[80:81]
	v_fma_f64 v[78:79], v[6:7], 2.0, -v[82:83]
	v_add_f64 v[4:5], v[180:181], -v[28:29]
	v_add_f64 v[6:7], v[182:183], -v[30:31]
	v_add_f64 v[100:101], v[16:17], v[22:23]
	v_add_f64 v[102:103], v[18:19], -v[20:21]
	v_fma_f64 v[24:25], v[24:25], 2.0, -v[8:9]
	v_fma_f64 v[26:27], v[26:27], 2.0, -v[10:11]
	;; [unrolled: 1-line block ×3, first 2 shown]
	s_waitcnt vmcnt(0)
	v_mul_f64 v[56:57], v[54:55], v[170:171]
	v_mul_f64 v[54:55], v[54:55], v[168:169]
	v_fma_f64 v[20:21], v[180:181], 2.0, -v[4:5]
	v_fma_f64 v[22:23], v[182:183], 2.0, -v[6:7]
	;; [unrolled: 1-line block ×6, first 2 shown]
	v_fma_f64 v[0:1], v[52:53], v[168:169], v[56:57]
	v_fma_f64 v[2:3], v[52:53], v[170:171], -v[54:55]
	v_add_f64 v[172:173], v[20:21], -v[24:25]
	v_add_f64 v[174:175], v[22:23], -v[26:27]
	v_add_f64 v[168:169], v[4:5], v[10:11]
	v_add_f64 v[170:171], v[6:7], -v[8:9]
	v_fma_f64 v[52:53], v[44:45], 2.0, -v[72:73]
	v_fma_f64 v[54:55], v[46:47], 2.0, -v[74:75]
	v_add_f64 v[0:1], v[36:37], -v[0:1]
	v_add_f64 v[2:3], v[38:39], -v[2:3]
	v_fma_f64 v[94:95], v[18:19], 2.0, -v[102:103]
	v_fma_f64 v[176:177], v[20:21], 2.0, -v[172:173]
	;; [unrolled: 1-line block ×7, first 2 shown]
	v_add_f64 v[104:105], v[12:13], v[2:3]
	v_add_f64 v[106:107], v[14:15], -v[0:1]
	s_barrier
	ds_write_b128 v117, v[52:55]
	ds_write_b128 v117, v[76:79] offset:208
	ds_write_b128 v117, v[72:75] offset:416
	ds_write_b128 v117, v[80:83] offset:624
	ds_write_b128 v118, v[84:87]
	ds_write_b128 v118, v[92:95] offset:208
	ds_write_b128 v118, v[88:91] offset:416
	ds_write_b128 v118, v[100:103] offset:624
	ds_write_b128 v119, v[176:179]
	ds_write_b128 v119, v[180:183] offset:208
	ds_write_b128 v119, v[172:175] offset:416
	ds_write_b128 v119, v[168:171] offset:624
	v_add_f64 v[96:97], v[28:29], -v[32:33]
	v_add_f64 v[98:99], v[30:31], -v[34:35]
	v_fma_f64 v[108:109], v[12:13], 2.0, -v[104:105]
	v_fma_f64 v[110:111], v[14:15], 2.0, -v[106:107]
	;; [unrolled: 1-line block ×4, first 2 shown]
	s_and_saveexec_b64 s[4:5], s[0:1]
	s_cbranch_execz .LBB0_13
; %bb.12:
	buffer_load_dword v0, off, s[64:67], 0 offset:216 ; 4-byte Folded Reload
	buffer_load_dword v1, off, s[64:67], 0 offset:220 ; 4-byte Folded Reload
	s_waitcnt vmcnt(0)
	v_mad_legacy_u16 v0, v0, 52, v1
	v_lshl_add_u32 v0, v0, 4, v116
	ds_write_b128 v0, v[112:115]
	ds_write_b128 v0, v[108:111] offset:208
	ds_write_b128 v0, v[96:99] offset:416
	;; [unrolled: 1-line block ×3, first 2 shown]
.LBB0_13:
	s_or_b64 exec, exec, s[4:5]
	s_waitcnt lgkmcnt(0)
	s_barrier
	s_and_saveexec_b64 s[0:1], s[2:3]
	s_cbranch_execz .LBB0_15
; %bb.14:
	ds_read_b128 v[52:55], v255
	ds_read_b128 v[76:79], v255 offset:832
	ds_read_b128 v[72:75], v255 offset:1664
	;; [unrolled: 1-line block ×16, first 2 shown]
.LBB0_15:
	s_or_b64 exec, exec, s[0:1]
	s_and_saveexec_b64 s[0:1], s[2:3]
	s_cbranch_execz .LBB0_17
; %bb.16:
	buffer_load_dword v18, off, s[64:67], 0 offset:304 ; 4-byte Folded Reload
	buffer_load_dword v19, off, s[64:67], 0 offset:308 ; 4-byte Folded Reload
	;; [unrolled: 1-line block ×28, first 2 shown]
	s_waitcnt lgkmcnt(9)
	v_mul_f64 v[8:9], v[162:163], v[102:103]
	v_mul_f64 v[30:31], v[146:147], v[88:89]
	;; [unrolled: 1-line block ×4, first 2 shown]
	s_mov_b32 s18, 0xacd6c6b4
	s_mov_b32 s19, 0xbfc7851a
	;; [unrolled: 1-line block ×4, first 2 shown]
	v_fma_f64 v[12:13], v[160:161], v[100:101], v[8:9]
	v_fma_f64 v[128:129], v[144:145], v[90:91], -v[30:31]
	s_waitcnt lgkmcnt(3)
	v_mul_f64 v[30:31], v[158:159], v[110:111]
	s_mov_b32 s37, 0x3fd71e95
	s_mov_b32 s13, 0xbfef7484
	;; [unrolled: 1-line block ×42, first 2 shown]
	s_waitcnt vmcnt(24)
	v_mul_f64 v[0:1], v[20:21], v[178:179]
	s_waitcnt vmcnt(20)
	v_mul_f64 v[2:3], v[24:25], v[182:183]
	;; [unrolled: 2-line block ×3, first 2 shown]
	v_mul_f64 v[14:15], v[20:21], v[176:177]
	v_mul_f64 v[16:17], v[24:25], v[180:181]
	;; [unrolled: 1-line block ×4, first 2 shown]
	v_fma_f64 v[100:101], v[156:157], v[108:109], v[30:31]
	v_fma_f64 v[6:7], v[18:19], v[176:177], v[0:1]
	;; [unrolled: 1-line block ×4, first 2 shown]
	v_fma_f64 v[10:11], v[18:19], v[178:179], -v[14:15]
	v_mul_f64 v[14:15], v[146:147], v[90:91]
	s_waitcnt vmcnt(12)
	v_mul_f64 v[18:19], v[38:39], v[170:171]
	v_fma_f64 v[8:9], v[22:23], v[182:183], -v[16:17]
	v_fma_f64 v[26:27], v[160:161], v[102:103], -v[24:25]
	v_mul_f64 v[24:25], v[154:155], v[114:115]
	s_waitcnt vmcnt(8)
	v_mul_f64 v[42:43], v[46:47], v[80:81]
	v_add_f64 v[20:21], v[12:13], -v[2:3]
	v_add_f64 v[16:17], v[6:7], -v[4:5]
	v_fma_f64 v[22:23], v[144:145], v[88:89], v[14:15]
	v_fma_f64 v[14:15], v[36:37], v[168:169], v[18:19]
	v_fma_f64 v[18:19], v[40:41], v[174:175], -v[28:29]
	v_mul_f64 v[28:29], v[38:39], v[168:169]
	v_fma_f64 v[144:145], v[136:137], v[92:93], v[32:33]
	v_fma_f64 v[24:25], v[152:153], v[112:113], v[24:25]
	v_mul_f64 v[32:33], v[138:139], v[92:93]
	v_mul_f64 v[38:39], v[158:159], v[108:109]
	v_fma_f64 v[42:43], v[44:45], v[82:83], -v[42:43]
	v_add_f64 v[130:131], v[22:23], -v[14:15]
	v_add_f64 v[160:161], v[14:15], v[22:23]
	v_fma_f64 v[92:93], v[36:37], v[170:171], -v[28:29]
	v_mul_f64 v[28:29], v[154:155], v[112:113]
	v_fma_f64 v[112:113], v[132:133], v[84:85], v[34:35]
	v_mul_f64 v[34:35], v[46:47], v[82:83]
	v_fma_f64 v[30:31], v[136:137], v[94:95], -v[32:33]
	v_mul_f64 v[32:33], v[134:135], v[84:85]
	v_fma_f64 v[110:111], v[156:157], v[110:111], -v[38:39]
	s_waitcnt vmcnt(0) lgkmcnt(1)
	v_mul_f64 v[38:39], v[64:65], v[106:107]
	v_mul_f64 v[36:37], v[50:51], v[98:99]
	v_fma_f64 v[102:103], v[152:153], v[114:115], -v[28:29]
	v_mul_f64 v[28:29], v[126:127], v[78:79]
	v_fma_f64 v[116:117], v[44:45], v[80:81], v[34:35]
	s_waitcnt lgkmcnt(0)
	v_mul_f64 v[34:35], v[150:151], v[166:167]
	v_fma_f64 v[138:139], v[132:133], v[86:87], -v[32:33]
	v_mul_f64 v[32:33], v[122:123], v[74:75]
	v_fma_f64 v[114:115], v[62:63], v[104:105], v[38:39]
	v_mul_f64 v[38:39], v[64:65], v[104:105]
	v_fma_f64 v[94:95], v[48:49], v[96:97], v[36:37]
	v_fma_f64 v[40:41], v[124:125], v[76:77], v[28:29]
	v_mul_f64 v[28:29], v[126:127], v[76:77]
	v_fma_f64 v[108:109], v[148:149], v[164:165], v[34:35]
	v_mul_f64 v[34:35], v[150:151], v[164:165]
	;; [unrolled: 2-line block ×3, first 2 shown]
	v_add_f64 v[136:137], v[112:113], -v[100:101]
	v_add_f64 v[36:37], v[116:117], -v[94:95]
	;; [unrolled: 1-line block ×3, first 2 shown]
	v_fma_f64 v[46:47], v[124:125], v[78:79], -v[28:29]
	v_add_f64 v[168:169], v[40:41], -v[108:109]
	v_fma_f64 v[104:105], v[148:149], v[166:167], -v[34:35]
	v_mul_f64 v[34:35], v[50:51], v[96:97]
	v_add_f64 v[164:165], v[134:135], -v[114:115]
	v_fma_f64 v[44:45], v[120:121], v[74:75], -v[32:33]
	v_fma_f64 v[28:29], v[62:63], v[106:107], -v[38:39]
	v_mul_f64 v[64:65], v[36:37], s[24:25]
	v_mul_f64 v[66:67], v[136:137], s[44:45]
	;; [unrolled: 1-line block ×3, first 2 shown]
	v_add_f64 v[122:123], v[104:105], v[46:47]
	v_fma_f64 v[96:97], v[48:49], v[98:99], -v[34:35]
	v_mul_f64 v[62:63], v[164:165], s[36:37]
	v_add_f64 v[98:99], v[138:139], v[110:111]
	v_add_f64 v[106:107], v[28:29], v[44:45]
	v_mul_f64 v[68:69], v[118:119], s[26:27]
	v_add_f64 v[132:133], v[46:47], -v[104:105]
	v_mul_f64 v[70:71], v[130:131], s[40:41]
	v_fma_f64 v[32:33], v[122:123], s[12:13], v[58:59]
	v_add_f64 v[120:121], v[42:43], v[96:97]
	v_add_f64 v[126:127], v[44:45], -v[28:29]
	v_fma_f64 v[48:49], v[98:99], s[22:23], v[66:67]
	v_fma_f64 v[34:35], v[106:107], s[20:21], v[62:63]
	v_add_f64 v[124:125], v[108:109], v[40:41]
	v_mul_f64 v[74:75], v[132:133], s[18:19]
	v_add_f64 v[140:141], v[42:43], -v[96:97]
	v_add_f64 v[32:33], v[54:55], v[32:33]
	v_fma_f64 v[38:39], v[120:121], s[14:15], v[64:65]
	v_mul_f64 v[78:79], v[126:127], s[36:37]
	v_add_f64 v[146:147], v[138:139], -v[110:111]
	v_add_f64 v[156:157], v[30:31], -v[102:103]
	v_fma_f64 v[58:59], v[122:123], s[12:13], -v[58:59]
	v_fma_f64 v[80:81], v[124:125], s[12:13], -v[74:75]
	v_mul_f64 v[82:83], v[140:141], s[24:25]
	v_add_f64 v[32:33], v[34:35], v[32:33]
	v_add_f64 v[34:35], v[102:103], v[30:31]
	;; [unrolled: 1-line block ×3, first 2 shown]
	v_fma_f64 v[74:75], v[124:125], s[12:13], v[74:75]
	v_mul_f64 v[86:87], v[146:147], s[44:45]
	v_add_f64 v[154:155], v[128:129], -v[92:93]
	v_add_f64 v[80:81], v[52:53], v[80:81]
	v_add_f64 v[162:163], v[24:25], v[144:145]
	;; [unrolled: 1-line block ×4, first 2 shown]
	v_fma_f64 v[50:51], v[34:35], s[16:17], v[68:69]
	v_fma_f64 v[62:63], v[106:107], s[20:21], -v[62:63]
	v_add_f64 v[58:59], v[54:55], v[58:59]
	v_add_f64 v[74:75], v[52:53], v[74:75]
	v_fma_f64 v[90:91], v[142:143], s[22:23], -v[86:87]
	v_add_f64 v[150:151], v[26:27], -v[18:19]
	v_add_f64 v[48:49], v[48:49], v[38:39]
	v_fma_f64 v[72:73], v[32:33], s[30:31], v[70:71]
	v_fma_f64 v[64:65], v[120:121], s[14:15], -v[64:65]
	v_mul_f64 v[56:57], v[20:21], s[4:5]
	v_add_f64 v[58:59], v[62:63], v[58:59]
	v_add_f64 v[38:39], v[26:27], v[18:19]
	v_add_f64 v[148:149], v[10:11], -v[8:9]
	v_add_f64 v[158:159], v[12:13], v[2:3]
	v_add_f64 v[48:49], v[50:51], v[48:49]
	;; [unrolled: 1-line block ×3, first 2 shown]
	v_fma_f64 v[66:67], v[98:99], s[22:23], -v[66:67]
	v_add_f64 v[0:1], v[10:11], v[8:9]
	v_add_f64 v[58:59], v[64:65], v[58:59]
	v_fma_f64 v[64:65], v[142:143], s[22:23], v[86:87]
	v_mul_f64 v[60:61], v[16:17], s[46:47]
	v_fma_f64 v[76:77], v[38:39], s[28:29], v[56:57]
	v_add_f64 v[72:73], v[72:73], v[48:49]
	v_add_f64 v[48:49], v[116:117], v[94:95]
	v_fma_f64 v[84:85], v[50:51], s[20:21], -v[78:79]
	v_fma_f64 v[78:79], v[50:51], s[20:21], v[78:79]
	v_add_f64 v[152:153], v[6:7], v[4:5]
	v_fma_f64 v[68:69], v[34:35], s[16:17], -v[68:69]
	v_add_f64 v[58:59], v[66:67], v[58:59]
	v_fma_f64 v[70:71], v[32:33], s[30:31], -v[70:71]
	v_mul_f64 v[166:167], v[126:127], s[40:41]
	v_fma_f64 v[88:89], v[48:49], s[14:15], -v[82:83]
	v_add_f64 v[80:81], v[84:85], v[80:81]
	v_mul_f64 v[84:85], v[156:157], s[26:27]
	v_fma_f64 v[62:63], v[48:49], s[14:15], v[82:83]
	v_add_f64 v[74:75], v[78:79], v[74:75]
	v_mul_f64 v[78:79], v[154:155], s[40:41]
	v_add_f64 v[58:59], v[68:69], v[58:59]
	v_mul_f64 v[178:179], v[140:141], s[38:39]
	v_fma_f64 v[180:181], v[50:51], s[30:31], -v[166:167]
	v_add_f64 v[80:81], v[88:89], v[80:81]
	v_fma_f64 v[82:83], v[162:163], s[16:17], -v[84:85]
	v_fma_f64 v[66:67], v[162:163], s[16:17], v[84:85]
	v_add_f64 v[62:63], v[62:63], v[74:75]
	v_mul_f64 v[74:75], v[150:151], s[4:5]
	v_fma_f64 v[86:87], v[160:161], s[30:31], -v[78:79]
	v_fma_f64 v[84:85], v[0:1], s[2:3], v[60:61]
	v_fma_f64 v[68:69], v[160:161], s[30:31], v[78:79]
	v_add_f64 v[80:81], v[90:91], v[80:81]
	v_fma_f64 v[78:79], v[38:39], s[28:29], -v[56:57]
	v_add_f64 v[70:71], v[70:71], v[58:59]
	v_add_f64 v[62:63], v[64:65], v[62:63]
	v_mul_f64 v[64:65], v[148:149], s[46:47]
	v_mul_f64 v[88:89], v[36:37], s[38:39]
	;; [unrolled: 1-line block ×4, first 2 shown]
	v_add_f64 v[80:81], v[82:83], v[80:81]
	v_fma_f64 v[82:83], v[158:159], s[28:29], -v[74:75]
	v_fma_f64 v[184:185], v[48:49], s[2:3], -v[178:179]
	v_add_f64 v[62:63], v[66:67], v[62:63]
	v_add_f64 v[66:67], v[76:77], v[72:73]
	v_fma_f64 v[72:73], v[152:153], s[2:3], -v[64:65]
	v_fma_f64 v[176:177], v[120:121], s[2:3], v[88:89]
	v_fma_f64 v[88:89], v[120:121], s[2:3], -v[88:89]
	v_add_f64 v[80:81], v[86:87], v[80:81]
	v_fma_f64 v[74:75], v[158:159], s[28:29], v[74:75]
	v_add_f64 v[70:71], v[78:79], v[70:71]
	v_add_f64 v[62:63], v[68:69], v[62:63]
	;; [unrolled: 1-line block ×3, first 2 shown]
	v_mul_f64 v[84:85], v[132:133], s[24:25]
	v_mul_f64 v[68:69], v[130:131], s[18:19]
	;; [unrolled: 1-line block ×3, first 2 shown]
	v_add_f64 v[76:77], v[82:83], v[80:81]
	v_mul_f64 v[82:83], v[164:165], s[40:41]
	v_mul_f64 v[80:81], v[118:119], s[34:35]
	v_add_f64 v[62:63], v[74:75], v[62:63]
	v_fma_f64 v[60:61], v[0:1], s[2:3], -v[60:61]
	v_fma_f64 v[170:171], v[124:125], s[14:15], -v[84:85]
	v_fma_f64 v[84:85], v[124:125], s[14:15], v[84:85]
	v_fma_f64 v[78:79], v[32:33], s[12:13], v[68:69]
	v_add_f64 v[56:57], v[72:73], v[76:77]
	v_mul_f64 v[76:77], v[168:169], s[24:25]
	v_fma_f64 v[90:91], v[106:107], s[30:31], v[82:83]
	v_fma_f64 v[82:83], v[106:107], s[30:31], -v[82:83]
	v_fma_f64 v[174:175], v[34:35], s[20:21], v[80:81]
	v_add_f64 v[170:171], v[52:53], v[170:171]
	v_add_f64 v[84:85], v[52:53], v[84:85]
	v_fma_f64 v[80:81], v[34:35], s[20:21], -v[80:81]
	v_fma_f64 v[74:75], v[38:39], s[22:23], v[66:67]
	v_fma_f64 v[86:87], v[122:123], s[14:15], v[76:77]
	v_fma_f64 v[76:77], v[122:123], s[14:15], -v[76:77]
	v_mul_f64 v[72:73], v[16:17], s[4:5]
	v_fma_f64 v[64:65], v[152:153], s[2:3], v[64:65]
	v_add_f64 v[170:171], v[180:181], v[170:171]
	v_fma_f64 v[180:181], v[142:143], s[16:17], -v[182:183]
	v_fma_f64 v[68:69], v[32:33], s[12:13], -v[68:69]
	v_mul_f64 v[196:197], v[146:147], s[48:49]
	v_add_f64 v[86:87], v[54:55], v[86:87]
	v_add_f64 v[76:77], v[54:55], v[76:77]
	v_mul_f64 v[200:201], v[118:119], s[48:49]
	v_add_f64 v[64:65], v[64:65], v[62:63]
	v_mul_f64 v[204:205], v[146:147], s[36:37]
	v_add_f64 v[46:47], v[54:55], v[46:47]
	v_add_f64 v[40:41], v[52:53], v[40:41]
	;; [unrolled: 1-line block ×3, first 2 shown]
	v_fma_f64 v[90:91], v[98:99], s[16:17], v[172:173]
	v_add_f64 v[76:77], v[82:83], v[76:77]
	v_fma_f64 v[82:83], v[50:51], s[30:31], v[166:167]
	v_add_f64 v[166:167], v[184:185], v[170:171]
	v_fma_f64 v[172:173], v[98:99], s[16:17], -v[172:173]
	v_mul_f64 v[184:185], v[140:141], s[34:35]
	v_fma_f64 v[208:209], v[142:143], s[20:21], -v[204:205]
	v_add_f64 v[86:87], v[176:177], v[86:87]
	v_mul_f64 v[176:177], v[156:157], s[34:35]
	v_add_f64 v[76:77], v[88:89], v[76:77]
	v_fma_f64 v[88:89], v[48:49], s[2:3], v[178:179]
	v_add_f64 v[82:83], v[82:83], v[84:85]
	v_add_f64 v[84:85], v[180:181], v[166:167]
	v_mul_f64 v[166:167], v[150:151], s[44:45]
	v_mul_f64 v[180:181], v[36:37], s[34:35]
	v_add_f64 v[86:87], v[90:91], v[86:87]
	v_mul_f64 v[90:91], v[154:155], s[18:19]
	v_fma_f64 v[170:171], v[162:163], s[20:21], -v[176:177]
	v_add_f64 v[76:77], v[172:173], v[76:77]
	v_fma_f64 v[172:173], v[142:143], s[16:17], v[182:183]
	v_add_f64 v[82:83], v[88:89], v[82:83]
	v_fma_f64 v[88:89], v[158:159], s[22:23], -v[166:167]
	v_fma_f64 v[188:189], v[120:121], s[20:21], v[180:181]
	v_add_f64 v[86:87], v[174:175], v[86:87]
	v_fma_f64 v[174:175], v[160:161], s[12:13], -v[90:91]
	v_add_f64 v[84:85], v[170:171], v[84:85]
	v_add_f64 v[76:77], v[80:81], v[76:77]
	v_fma_f64 v[80:81], v[162:163], s[20:21], v[176:177]
	v_add_f64 v[82:83], v[172:173], v[82:83]
	v_fma_f64 v[170:171], v[0:1], s[28:29], v[72:73]
	v_fma_f64 v[172:173], v[38:39], s[22:23], -v[66:67]
	v_add_f64 v[78:79], v[78:79], v[86:87]
	v_mul_f64 v[86:87], v[148:149], s[4:5]
	v_add_f64 v[84:85], v[174:175], v[84:85]
	v_add_f64 v[66:67], v[60:61], v[70:71]
	v_fma_f64 v[70:71], v[0:1], s[28:29], -v[72:73]
	v_add_f64 v[80:81], v[80:81], v[82:83]
	v_fma_f64 v[72:73], v[158:159], s[22:23], v[166:167]
	v_mul_f64 v[166:167], v[164:165], s[50:51]
	v_add_f64 v[74:75], v[74:75], v[78:79]
	v_fma_f64 v[78:79], v[152:153], s[28:29], -v[86:87]
	v_add_f64 v[82:83], v[88:89], v[84:85]
	v_mul_f64 v[88:89], v[132:133], s[26:27]
	v_mul_f64 v[174:175], v[126:127], s[50:51]
	v_add_f64 v[68:69], v[68:69], v[76:77]
	v_fma_f64 v[76:77], v[160:161], s[12:13], v[90:91]
	v_fma_f64 v[182:183], v[106:107], s[28:29], v[166:167]
	v_add_f64 v[62:63], v[170:171], v[74:75]
	v_mul_f64 v[90:91], v[136:137], s[24:25]
	v_add_f64 v[60:61], v[78:79], v[82:83]
	v_mul_f64 v[82:83], v[168:169], s[26:27]
	v_fma_f64 v[176:177], v[124:125], s[16:17], -v[88:89]
	v_fma_f64 v[186:187], v[50:51], s[28:29], -v[174:175]
	v_fma_f64 v[166:167], v[106:107], s[28:29], -v[166:167]
	v_fma_f64 v[88:89], v[124:125], s[16:17], v[88:89]
	v_fma_f64 v[190:191], v[48:49], s[20:21], -v[184:185]
	v_mul_f64 v[84:85], v[118:119], s[46:47]
	v_fma_f64 v[178:179], v[98:99], s[14:15], v[90:91]
	v_fma_f64 v[170:171], v[122:123], s[16:17], v[82:83]
	v_fma_f64 v[82:83], v[122:123], s[16:17], -v[82:83]
	v_add_f64 v[176:177], v[52:53], v[176:177]
	v_fma_f64 v[180:181], v[120:121], s[20:21], -v[180:181]
	v_add_f64 v[88:89], v[52:53], v[88:89]
	v_add_f64 v[68:69], v[172:173], v[68:69]
	v_mul_f64 v[78:79], v[130:131], s[42:43]
	v_fma_f64 v[172:173], v[34:35], s[2:3], v[84:85]
	v_add_f64 v[170:171], v[54:55], v[170:171]
	v_add_f64 v[82:83], v[54:55], v[82:83]
	;; [unrolled: 1-line block ×3, first 2 shown]
	v_fma_f64 v[90:91], v[98:99], s[14:15], -v[90:91]
	v_add_f64 v[74:75], v[76:77], v[80:81]
	v_mul_f64 v[76:77], v[20:21], s[18:19]
	v_add_f64 v[70:71], v[70:71], v[68:69]
	v_fma_f64 v[68:69], v[152:153], s[28:29], v[86:87]
	v_add_f64 v[170:171], v[182:183], v[170:171]
	v_mul_f64 v[182:183], v[146:147], s[24:25]
	v_add_f64 v[82:83], v[166:167], v[82:83]
	v_fma_f64 v[166:167], v[50:51], s[28:29], v[174:175]
	v_mul_f64 v[174:175], v[156:157], s[46:47]
	v_add_f64 v[176:177], v[190:191], v[176:177]
	v_fma_f64 v[86:87], v[32:33], s[22:23], v[78:79]
	v_fma_f64 v[84:85], v[34:35], s[2:3], -v[84:85]
	v_add_f64 v[170:171], v[188:189], v[170:171]
	v_fma_f64 v[186:187], v[142:143], s[14:15], -v[182:183]
	v_add_f64 v[82:83], v[180:181], v[82:83]
	v_fma_f64 v[180:181], v[48:49], s[20:21], v[184:185]
	v_add_f64 v[88:89], v[166:167], v[88:89]
	v_fma_f64 v[80:81], v[38:39], s[12:13], v[76:77]
	v_fma_f64 v[78:79], v[32:33], s[22:23], -v[78:79]
	v_add_f64 v[72:73], v[72:73], v[74:75]
	v_add_f64 v[166:167], v[178:179], v[170:171]
	v_mul_f64 v[170:171], v[154:155], s[42:43]
	v_fma_f64 v[178:179], v[162:163], s[2:3], -v[174:175]
	v_add_f64 v[176:177], v[186:187], v[176:177]
	v_add_f64 v[82:83], v[90:91], v[82:83]
	v_fma_f64 v[90:91], v[142:143], s[14:15], v[182:183]
	v_add_f64 v[88:89], v[180:181], v[88:89]
	v_mul_f64 v[74:75], v[16:17], s[40:41]
	v_add_f64 v[166:167], v[172:173], v[166:167]
	v_mul_f64 v[172:173], v[150:151], s[18:19]
	v_fma_f64 v[180:181], v[160:161], s[22:23], -v[170:171]
	v_add_f64 v[176:177], v[178:179], v[176:177]
	v_add_f64 v[82:83], v[84:85], v[82:83]
	v_fma_f64 v[84:85], v[162:163], s[2:3], v[174:175]
	v_add_f64 v[88:89], v[90:91], v[88:89]
	v_mul_f64 v[90:91], v[148:149], s[40:41]
	v_add_f64 v[86:87], v[86:87], v[166:167]
	v_fma_f64 v[166:167], v[158:159], s[12:13], -v[172:173]
	v_fma_f64 v[76:77], v[38:39], s[12:13], -v[76:77]
	v_add_f64 v[174:175], v[180:181], v[176:177]
	v_add_f64 v[78:79], v[78:79], v[82:83]
	v_fma_f64 v[82:83], v[160:161], s[22:23], v[170:171]
	v_add_f64 v[84:85], v[84:85], v[88:89]
	v_fma_f64 v[170:171], v[0:1], s[30:31], -v[74:75]
	v_add_f64 v[80:81], v[80:81], v[86:87]
	v_fma_f64 v[86:87], v[152:153], s[30:31], -v[90:91]
	v_fma_f64 v[172:173], v[158:159], s[12:13], v[172:173]
	v_add_f64 v[166:167], v[166:167], v[174:175]
	v_add_f64 v[76:77], v[76:77], v[78:79]
	;; [unrolled: 1-line block ×4, first 2 shown]
	v_mul_f64 v[178:179], v[126:127], s[54:55]
	v_mul_f64 v[182:183], v[36:37], s[44:45]
	;; [unrolled: 1-line block ×4, first 2 shown]
	v_add_f64 v[72:73], v[86:87], v[166:167]
	v_mul_f64 v[86:87], v[168:169], s[4:5]
	v_add_f64 v[78:79], v[170:171], v[76:77]
	v_add_f64 v[82:83], v[172:173], v[82:83]
	v_mul_f64 v[170:171], v[132:133], s[4:5]
	v_mul_f64 v[172:173], v[164:165], s[54:55]
	v_fma_f64 v[192:193], v[50:51], s[14:15], -v[178:179]
	v_fma_f64 v[194:195], v[120:121], s[22:23], v[182:183]
	v_mul_f64 v[176:177], v[118:119], s[18:19]
	v_fma_f64 v[174:175], v[122:123], s[28:29], v[86:87]
	v_fma_f64 v[86:87], v[122:123], s[28:29], -v[86:87]
	v_fma_f64 v[198:199], v[48:49], s[22:23], -v[190:191]
	;; [unrolled: 1-line block ×3, first 2 shown]
	v_fma_f64 v[184:185], v[106:107], s[14:15], v[172:173]
	v_fma_f64 v[170:171], v[124:125], s[28:29], v[170:171]
	v_fma_f64 v[172:173], v[106:107], s[14:15], -v[172:173]
	v_fma_f64 v[88:89], v[0:1], s[30:31], v[74:75]
	v_add_f64 v[174:175], v[54:55], v[174:175]
	v_add_f64 v[86:87], v[54:55], v[86:87]
	v_mul_f64 v[84:85], v[130:131], s[46:47]
	v_add_f64 v[180:181], v[52:53], v[180:181]
	v_fma_f64 v[188:189], v[34:35], s[12:13], v[176:177]
	v_fma_f64 v[178:179], v[50:51], s[14:15], v[178:179]
	v_add_f64 v[170:171], v[52:53], v[170:171]
	v_fma_f64 v[182:183], v[120:121], s[22:23], -v[182:183]
	v_add_f64 v[174:175], v[184:185], v[174:175]
	v_fma_f64 v[184:185], v[98:99], s[30:31], v[186:187]
	v_add_f64 v[86:87], v[172:173], v[86:87]
	v_add_f64 v[180:181], v[192:193], v[180:181]
	v_mul_f64 v[192:193], v[156:157], s[18:19]
	v_add_f64 v[74:75], v[88:89], v[80:81]
	v_mul_f64 v[80:81], v[20:21], s[34:35]
	v_fma_f64 v[166:167], v[32:33], s[2:3], v[84:85]
	v_add_f64 v[174:175], v[194:195], v[174:175]
	v_fma_f64 v[194:195], v[142:143], s[30:31], -v[196:197]
	v_fma_f64 v[190:191], v[48:49], s[22:23], v[190:191]
	v_add_f64 v[180:181], v[198:199], v[180:181]
	v_add_f64 v[170:171], v[178:179], v[170:171]
	;; [unrolled: 1-line block ×3, first 2 shown]
	v_fma_f64 v[76:77], v[152:153], s[30:31], v[90:91]
	v_mul_f64 v[88:89], v[16:17], s[26:27]
	v_add_f64 v[172:173], v[184:185], v[174:175]
	v_mul_f64 v[174:175], v[154:155], s[46:47]
	v_fma_f64 v[184:185], v[162:163], s[12:13], -v[192:193]
	v_add_f64 v[178:179], v[194:195], v[180:181]
	v_fma_f64 v[180:181], v[98:99], s[30:31], -v[186:187]
	v_fma_f64 v[90:91], v[38:39], s[20:21], v[80:81]
	v_mul_f64 v[182:183], v[150:151], s[34:35]
	v_add_f64 v[170:171], v[190:191], v[170:171]
	v_add_f64 v[172:173], v[188:189], v[172:173]
	v_fma_f64 v[186:187], v[160:161], s[2:3], -v[174:175]
	v_fma_f64 v[188:189], v[142:143], s[30:31], v[196:197]
	v_add_f64 v[178:179], v[184:185], v[178:179]
	v_fma_f64 v[176:177], v[34:35], s[12:13], -v[176:177]
	v_add_f64 v[86:87], v[180:181], v[86:87]
	v_fma_f64 v[180:181], v[158:159], s[20:21], -v[182:183]
	v_fma_f64 v[184:185], v[162:163], s[12:13], v[192:193]
	v_add_f64 v[166:167], v[166:167], v[172:173]
	v_mul_f64 v[172:173], v[148:149], s[26:27]
	v_add_f64 v[170:171], v[188:189], v[170:171]
	v_add_f64 v[178:179], v[186:187], v[178:179]
	v_fma_f64 v[84:85], v[32:33], s[2:3], -v[84:85]
	v_add_f64 v[86:87], v[176:177], v[86:87]
	v_fma_f64 v[176:177], v[0:1], s[16:17], v[88:89]
	v_fma_f64 v[174:175], v[160:161], s[2:3], v[174:175]
	v_add_f64 v[90:91], v[90:91], v[166:167]
	v_fma_f64 v[166:167], v[152:153], s[16:17], -v[172:173]
	v_add_f64 v[170:171], v[184:185], v[170:171]
	v_add_f64 v[178:179], v[180:181], v[178:179]
	;; [unrolled: 1-line block ×3, first 2 shown]
	v_fma_f64 v[180:181], v[38:39], s[20:21], -v[80:81]
	v_add_f64 v[84:85], v[84:85], v[86:87]
	v_fma_f64 v[86:87], v[158:159], s[20:21], v[182:183]
	v_add_f64 v[82:83], v[176:177], v[90:91]
	v_mul_f64 v[90:91], v[168:169], s[38:39]
	v_add_f64 v[170:171], v[174:175], v[170:171]
	v_add_f64 v[80:81], v[166:167], v[178:179]
	v_mul_f64 v[166:167], v[164:165], s[18:19]
	v_mul_f64 v[174:175], v[132:133], s[38:39]
	v_add_f64 v[84:85], v[180:181], v[84:85]
	v_mul_f64 v[180:181], v[36:37], s[50:51]
	v_mul_f64 v[184:185], v[126:127], s[18:19]
	v_fma_f64 v[176:177], v[122:123], s[2:3], v[90:91]
	v_mul_f64 v[192:193], v[136:137], s[36:37]
	v_mul_f64 v[196:197], v[140:141], s[50:51]
	v_fma_f64 v[182:183], v[106:107], s[12:13], v[166:167]
	v_fma_f64 v[186:187], v[124:125], s[2:3], -v[174:175]
	v_fma_f64 v[90:91], v[122:123], s[2:3], -v[90:91]
	v_fma_f64 v[194:195], v[120:121], s[28:29], v[180:181]
	v_fma_f64 v[198:199], v[50:51], s[12:13], -v[184:185]
	v_add_f64 v[176:177], v[54:55], v[176:177]
	v_fma_f64 v[202:203], v[98:99], s[20:21], v[192:193]
	v_fma_f64 v[206:207], v[48:49], s[28:29], -v[196:197]
	v_fma_f64 v[166:167], v[106:107], s[12:13], -v[166:167]
	v_add_f64 v[186:187], v[52:53], v[186:187]
	v_add_f64 v[90:91], v[54:55], v[90:91]
	v_fma_f64 v[174:175], v[124:125], s[2:3], v[174:175]
	v_mul_f64 v[188:189], v[130:131], s[24:25]
	v_add_f64 v[176:177], v[182:183], v[176:177]
	v_fma_f64 v[180:181], v[120:121], s[28:29], -v[180:181]
	v_fma_f64 v[184:185], v[50:51], s[12:13], v[184:185]
	v_add_f64 v[86:87], v[86:87], v[170:171]
	v_add_f64 v[186:187], v[198:199], v[186:187]
	v_mul_f64 v[198:199], v[156:157], s[48:49]
	v_add_f64 v[90:91], v[166:167], v[90:91]
	v_add_f64 v[174:175], v[52:53], v[174:175]
	;; [unrolled: 1-line block ×3, first 2 shown]
	v_fma_f64 v[194:195], v[34:35], s[30:31], v[200:201]
	v_mul_f64 v[170:171], v[20:21], s[52:53]
	v_fma_f64 v[182:183], v[32:33], s[14:15], v[188:189]
	v_add_f64 v[186:187], v[206:207], v[186:187]
	v_mul_f64 v[166:167], v[154:155], s[24:25]
	v_fma_f64 v[192:193], v[98:99], s[20:21], -v[192:193]
	v_add_f64 v[90:91], v[180:181], v[90:91]
	v_add_f64 v[176:177], v[202:203], v[176:177]
	v_fma_f64 v[202:203], v[162:163], s[30:31], -v[198:199]
	v_fma_f64 v[196:197], v[48:49], s[28:29], v[196:197]
	v_add_f64 v[174:175], v[184:185], v[174:175]
	v_add_f64 v[186:187], v[208:209], v[186:187]
	v_mul_f64 v[178:179], v[16:17], s[44:45]
	v_fma_f64 v[190:191], v[38:39], s[16:17], v[170:171]
	v_mul_f64 v[180:181], v[150:151], s[52:53]
	v_add_f64 v[176:177], v[194:195], v[176:177]
	v_fma_f64 v[194:195], v[160:161], s[14:15], -v[166:167]
	v_add_f64 v[90:91], v[192:193], v[90:91]
	v_add_f64 v[174:175], v[196:197], v[174:175]
	;; [unrolled: 1-line block ×3, first 2 shown]
	v_fma_f64 v[88:89], v[0:1], s[16:17], -v[88:89]
	v_fma_f64 v[172:173], v[152:153], s[16:17], v[172:173]
	v_mul_f64 v[186:187], v[148:149], s[44:45]
	v_add_f64 v[176:177], v[182:183], v[176:177]
	v_fma_f64 v[182:183], v[34:35], s[30:31], -v[200:201]
	v_fma_f64 v[200:201], v[142:143], s[20:21], v[204:205]
	v_fma_f64 v[192:193], v[158:159], s[16:17], -v[180:181]
	v_add_f64 v[184:185], v[194:195], v[184:185]
	v_fma_f64 v[194:195], v[0:1], s[22:23], v[178:179]
	v_fma_f64 v[188:189], v[32:33], s[14:15], -v[188:189]
	v_fma_f64 v[196:197], v[162:163], s[30:31], v[198:199]
	v_add_f64 v[176:177], v[190:191], v[176:177]
	v_add_f64 v[182:183], v[182:183], v[90:91]
	v_add_f64 v[174:175], v[200:201], v[174:175]
	v_fma_f64 v[190:191], v[152:153], s[22:23], -v[186:187]
	v_add_f64 v[184:185], v[192:193], v[184:185]
	v_add_f64 v[90:91], v[88:89], v[84:85]
	v_fma_f64 v[170:171], v[38:39], s[16:17], -v[170:171]
	v_add_f64 v[88:89], v[172:173], v[86:87]
	v_add_f64 v[86:87], v[194:195], v[176:177]
	;; [unrolled: 1-line block ×3, first 2 shown]
	v_fma_f64 v[166:167], v[160:161], s[14:15], v[166:167]
	v_add_f64 v[172:173], v[196:197], v[174:175]
	v_mul_f64 v[174:175], v[168:169], s[48:49]
	v_fma_f64 v[176:177], v[0:1], s[22:23], -v[178:179]
	v_mul_f64 v[178:179], v[132:133], s[48:49]
	v_add_f64 v[84:85], v[190:191], v[184:185]
	s_mov_b32 s47, 0x3fc7851a
	v_add_f64 v[170:171], v[170:171], v[182:183]
	v_fma_f64 v[182:183], v[152:153], s[22:23], v[186:187]
	v_add_f64 v[166:167], v[166:167], v[172:173]
	v_mul_f64 v[172:173], v[164:165], s[26:27]
	v_fma_f64 v[184:185], v[122:123], s[30:31], v[174:175]
	v_mul_f64 v[186:187], v[126:127], s[26:27]
	v_fma_f64 v[188:189], v[124:125], s[30:31], -v[178:179]
	s_mov_b32 s46, s18
	v_mul_f64 v[190:191], v[36:37], s[46:47]
	v_fma_f64 v[174:175], v[122:123], s[30:31], -v[174:175]
	v_mul_f64 v[194:195], v[140:141], s[46:47]
	v_fma_f64 v[192:193], v[106:107], s[16:17], v[172:173]
	v_add_f64 v[184:185], v[54:55], v[184:185]
	v_fma_f64 v[196:197], v[50:51], s[16:17], -v[186:187]
	v_add_f64 v[188:189], v[52:53], v[188:189]
	v_mul_f64 v[198:199], v[136:137], s[50:51]
	v_fma_f64 v[172:173], v[106:107], s[16:17], -v[172:173]
	v_add_f64 v[174:175], v[54:55], v[174:175]
	v_fma_f64 v[200:201], v[120:121], s[12:13], v[190:191]
	v_fma_f64 v[202:203], v[48:49], s[12:13], -v[194:195]
	v_add_f64 v[184:185], v[192:193], v[184:185]
	v_mul_f64 v[192:193], v[146:147], s[50:51]
	v_add_f64 v[188:189], v[196:197], v[188:189]
	v_mul_f64 v[196:197], v[118:119], s[44:45]
	v_fma_f64 v[190:191], v[120:121], s[12:13], -v[190:191]
	v_add_f64 v[172:173], v[172:173], v[174:175]
	v_fma_f64 v[174:175], v[98:99], s[28:29], v[198:199]
	v_fma_f64 v[198:199], v[98:99], s[28:29], -v[198:199]
	v_add_f64 v[184:185], v[200:201], v[184:185]
	v_mul_f64 v[200:201], v[156:157], s[44:45]
	v_fma_f64 v[204:205], v[142:143], s[28:29], -v[192:193]
	v_add_f64 v[188:189], v[202:203], v[188:189]
	v_mul_f64 v[202:203], v[130:131], s[34:35]
	v_add_f64 v[172:173], v[190:191], v[172:173]
	v_fma_f64 v[190:191], v[34:35], s[22:23], v[196:197]
	v_fma_f64 v[196:197], v[34:35], s[22:23], -v[196:197]
	v_add_f64 v[174:175], v[174:175], v[184:185]
	v_mul_f64 v[184:185], v[154:155], s[34:35]
	v_fma_f64 v[206:207], v[162:163], s[22:23], -v[200:201]
	v_add_f64 v[188:189], v[204:205], v[188:189]
	v_mul_f64 v[204:205], v[20:21], s[38:39]
	v_add_f64 v[172:173], v[198:199], v[172:173]
	v_fma_f64 v[198:199], v[32:33], s[20:21], v[202:203]
	v_fma_f64 v[180:181], v[158:159], s[16:17], v[180:181]
	v_add_f64 v[174:175], v[190:191], v[174:175]
	v_mul_f64 v[190:191], v[150:151], s[38:39]
	v_fma_f64 v[208:209], v[160:161], s[20:21], -v[184:185]
	v_add_f64 v[188:189], v[206:207], v[188:189]
	v_mul_f64 v[206:207], v[16:17], s[24:25]
	v_fma_f64 v[202:203], v[32:33], s[20:21], -v[202:203]
	v_add_f64 v[172:173], v[196:197], v[172:173]
	v_fma_f64 v[196:197], v[38:39], s[2:3], v[204:205]
	v_add_f64 v[174:175], v[198:199], v[174:175]
	v_mul_f64 v[198:199], v[148:149], s[24:25]
	v_fma_f64 v[210:211], v[158:159], s[2:3], -v[190:191]
	v_add_f64 v[188:189], v[208:209], v[188:189]
	v_add_f64 v[166:167], v[180:181], v[166:167]
	v_fma_f64 v[180:181], v[38:39], s[2:3], -v[204:205]
	v_add_f64 v[202:203], v[202:203], v[172:173]
	v_fma_f64 v[204:205], v[0:1], s[14:15], v[206:207]
	v_add_f64 v[174:175], v[196:197], v[174:175]
	v_fma_f64 v[196:197], v[152:153], s[14:15], -v[198:199]
	v_mul_f64 v[208:209], v[168:169], s[42:43]
	v_add_f64 v[188:189], v[210:211], v[188:189]
	v_add_f64 v[44:45], v[44:45], v[46:47]
	;; [unrolled: 1-line block ×4, first 2 shown]
	v_fma_f64 v[206:207], v[0:1], s[14:15], -v[206:207]
	v_add_f64 v[180:181], v[180:181], v[202:203]
	v_add_f64 v[170:171], v[182:183], v[166:167]
	;; [unrolled: 1-line block ×3, first 2 shown]
	v_mul_f64 v[182:183], v[132:133], s[42:43]
	v_fma_f64 v[178:179], v[124:125], s[30:31], v[178:179]
	v_add_f64 v[174:175], v[196:197], v[188:189]
	v_mul_f64 v[188:189], v[164:165], s[38:39]
	v_fma_f64 v[196:197], v[122:123], s[22:23], v[208:209]
	v_fma_f64 v[208:209], v[122:123], s[22:23], -v[208:209]
	v_add_f64 v[42:43], v[42:43], v[44:45]
	v_add_f64 v[40:41], v[116:117], v[40:41]
	;; [unrolled: 1-line block ×3, first 2 shown]
	v_fma_f64 v[180:181], v[50:51], s[16:17], v[186:187]
	v_mul_f64 v[186:187], v[126:127], s[38:39]
	v_fma_f64 v[202:203], v[124:125], s[22:23], -v[182:183]
	v_add_f64 v[178:179], v[52:53], v[178:179]
	v_mul_f64 v[204:205], v[36:37], s[26:27]
	v_fma_f64 v[206:207], v[106:107], s[2:3], v[188:189]
	v_fma_f64 v[188:189], v[106:107], s[2:3], -v[188:189]
	v_add_f64 v[208:209], v[54:55], v[208:209]
	v_fma_f64 v[182:183], v[124:125], s[22:23], v[182:183]
	v_add_f64 v[42:43], v[138:139], v[42:43]
	v_add_f64 v[40:41], v[112:113], v[40:41]
	;; [unrolled: 1-line block ×3, first 2 shown]
	v_fma_f64 v[194:195], v[48:49], s[12:13], v[194:195]
	v_mul_f64 v[210:211], v[140:141], s[26:27]
	v_fma_f64 v[212:213], v[50:51], s[2:3], -v[186:187]
	v_add_f64 v[202:203], v[52:53], v[202:203]
	v_add_f64 v[178:179], v[180:181], v[178:179]
	v_mul_f64 v[180:181], v[136:137], s[18:19]
	v_fma_f64 v[214:215], v[120:121], s[16:17], v[204:205]
	v_fma_f64 v[204:205], v[120:121], s[16:17], -v[204:205]
	v_mul_f64 v[168:169], v[168:169], s[34:35]
	v_add_f64 v[188:189], v[188:189], v[208:209]
	v_fma_f64 v[186:187], v[50:51], s[2:3], v[186:187]
	v_add_f64 v[182:183], v[52:53], v[182:183]
	v_add_f64 v[30:31], v[30:31], v[42:43]
	v_add_f64 v[40:41], v[144:145], v[40:41]
	v_add_f64 v[196:197], v[206:207], v[196:197]
	v_fma_f64 v[192:193], v[142:143], s[28:29], v[192:193]
	v_mul_f64 v[206:207], v[146:147], s[18:19]
	v_fma_f64 v[216:217], v[48:49], s[16:17], -v[210:211]
	v_add_f64 v[202:203], v[212:213], v[202:203]
	v_add_f64 v[178:179], v[194:195], v[178:179]
	v_mul_f64 v[194:195], v[118:119], s[54:55]
	v_fma_f64 v[212:213], v[98:99], s[12:13], v[180:181]
	v_fma_f64 v[180:181], v[98:99], s[12:13], -v[180:181]
	v_mul_f64 v[164:165], v[164:165], s[42:43]
	v_fma_f64 v[208:209], v[122:123], s[20:21], v[168:169]
	v_add_f64 v[188:189], v[204:205], v[188:189]
	v_fma_f64 v[204:205], v[48:49], s[16:17], v[210:211]
	v_add_f64 v[182:183], v[186:187], v[182:183]
	v_add_f64 v[30:31], v[128:129], v[30:31]
	v_add_f64 v[22:23], v[22:23], v[40:41]
	v_add_f64 v[196:197], v[214:215], v[196:197]
	v_fma_f64 v[200:201], v[162:163], s[22:23], v[200:201]
	v_mul_f64 v[214:215], v[156:157], s[54:55]
	v_fma_f64 v[218:219], v[142:143], s[12:13], -v[206:207]
	v_add_f64 v[202:203], v[216:217], v[202:203]
	v_add_f64 v[178:179], v[192:193], v[178:179]
	v_mul_f64 v[192:193], v[130:131], s[50:51]
	v_fma_f64 v[216:217], v[34:35], s[14:15], v[194:195]
	v_fma_f64 v[194:195], v[34:35], s[14:15], -v[194:195]
	v_mul_f64 v[36:37], v[36:37], s[48:49]
	v_fma_f64 v[186:187], v[106:107], s[22:23], v[164:165]
	v_add_f64 v[208:209], v[54:55], v[208:209]
	v_add_f64 v[180:181], v[180:181], v[188:189]
	v_fma_f64 v[188:189], v[142:143], s[12:13], v[206:207]
	v_add_f64 v[46:47], v[204:205], v[182:183]
	v_add_f64 v[26:27], v[26:27], v[30:31]
	;; [unrolled: 1-line block ×4, first 2 shown]
	v_mul_f64 v[212:213], v[154:155], s[50:51]
	v_fma_f64 v[220:221], v[162:163], s[14:15], -v[214:215]
	v_add_f64 v[202:203], v[218:219], v[202:203]
	v_add_f64 v[178:179], v[200:201], v[178:179]
	v_mul_f64 v[200:201], v[20:21], s[40:41]
	v_fma_f64 v[218:219], v[32:33], s[28:29], v[192:193]
	v_fma_f64 v[192:193], v[32:33], s[28:29], -v[192:193]
	v_mul_f64 v[134:135], v[136:137], s[38:39]
	v_fma_f64 v[136:137], v[120:121], s[30:31], v[36:37]
	v_add_f64 v[182:183], v[186:187], v[208:209]
	v_add_f64 v[180:181], v[194:195], v[180:181]
	v_fma_f64 v[186:187], v[162:163], s[14:15], v[214:215]
	v_add_f64 v[44:45], v[188:189], v[46:47]
	v_mul_f64 v[22:23], v[132:133], s[34:35]
	v_add_f64 v[10:11], v[10:11], v[26:27]
	v_add_f64 v[6:7], v[6:7], v[12:13]
	;; [unrolled: 1-line block ×3, first 2 shown]
	v_mul_f64 v[216:217], v[150:151], s[40:41]
	v_add_f64 v[202:203], v[220:221], v[202:203]
	v_fma_f64 v[220:221], v[38:39], s[30:31], v[200:201]
	v_fma_f64 v[200:201], v[38:39], s[30:31], -v[200:201]
	v_mul_f64 v[46:47], v[118:119], s[4:5]
	v_fma_f64 v[116:117], v[98:99], s[2:3], v[134:135]
	v_add_f64 v[118:119], v[136:137], v[182:183]
	v_add_f64 v[136:137], v[192:193], v[180:181]
	v_fma_f64 v[180:181], v[160:161], s[28:29], v[212:213]
	v_add_f64 v[44:45], v[186:187], v[44:45]
	v_fma_f64 v[122:123], v[122:123], s[20:21], -v[168:169]
	v_mul_f64 v[126:127], v[126:127], s[42:43]
	v_fma_f64 v[12:13], v[124:125], s[20:21], v[22:23]
	v_fma_f64 v[22:23], v[124:125], s[20:21], -v[22:23]
	v_add_f64 v[8:9], v[8:9], v[10:11]
	v_add_f64 v[4:5], v[4:5], v[6:7]
	;; [unrolled: 1-line block ×4, first 2 shown]
	v_fma_f64 v[136:137], v[158:159], s[30:31], v[216:217]
	v_add_f64 v[42:43], v[180:181], v[44:45]
	v_mul_f64 v[26:27], v[140:141], s[48:49]
	v_fma_f64 v[106:107], v[106:107], s[22:23], -v[164:165]
	v_add_f64 v[54:55], v[54:55], v[122:123]
	v_fma_f64 v[122:123], v[50:51], s[22:23], v[126:127]
	v_add_f64 v[6:7], v[52:53], v[12:13]
	v_fma_f64 v[10:11], v[50:51], s[22:23], -v[126:127]
	v_add_f64 v[12:13], v[52:53], v[22:23]
	v_add_f64 v[8:9], v[18:19], v[8:9]
	;; [unrolled: 1-line block ×4, first 2 shown]
	v_mul_f64 v[136:137], v[146:147], s[38:39]
	v_fma_f64 v[22:23], v[120:121], s[30:31], -v[36:37]
	v_add_f64 v[36:37], v[106:107], v[54:55]
	v_fma_f64 v[50:51], v[48:49], s[30:31], v[26:27]
	v_add_f64 v[4:5], v[122:123], v[6:7]
	v_fma_f64 v[6:7], v[48:49], s[30:31], -v[26:27]
	v_add_f64 v[10:11], v[10:11], v[12:13]
	v_add_f64 v[8:9], v[92:93], v[8:9]
	;; [unrolled: 1-line block ×3, first 2 shown]
	v_mul_f64 v[132:133], v[156:157], s[4:5]
	v_fma_f64 v[12:13], v[98:99], s[2:3], -v[134:135]
	v_add_f64 v[18:19], v[22:23], v[36:37]
	v_fma_f64 v[22:23], v[142:143], s[2:3], v[136:137]
	v_add_f64 v[4:5], v[50:51], v[4:5]
	v_fma_f64 v[14:15], v[142:143], s[2:3], -v[136:137]
	v_add_f64 v[6:7], v[6:7], v[10:11]
	v_add_f64 v[8:9], v[102:103], v[8:9]
	;; [unrolled: 1-line block ×3, first 2 shown]
	v_mul_f64 v[112:113], v[130:131], s[26:27]
	v_fma_f64 v[130:131], v[34:35], s[28:29], v[46:47]
	v_mul_f64 v[30:31], v[154:155], s[26:27]
	v_fma_f64 v[10:11], v[34:35], s[28:29], -v[46:47]
	v_add_f64 v[12:13], v[12:13], v[18:19]
	v_fma_f64 v[18:19], v[162:163], s[28:29], v[132:133]
	v_add_f64 v[4:5], v[22:23], v[4:5]
	v_fma_f64 v[184:185], v[160:161], s[20:21], v[184:185]
	v_fma_f64 v[22:23], v[162:163], s[28:29], -v[132:133]
	v_add_f64 v[6:7], v[14:15], v[6:7]
	v_add_f64 v[8:9], v[110:111], v[8:9]
	;; [unrolled: 1-line block ×3, first 2 shown]
	v_mul_f64 v[44:45], v[20:21], s[24:25]
	v_add_f64 v[116:117], v[130:131], v[116:117]
	v_mul_f64 v[130:131], v[150:151], s[24:25]
	v_fma_f64 v[14:15], v[32:33], s[16:17], -v[112:113]
	v_add_f64 v[10:11], v[10:11], v[12:13]
	v_fma_f64 v[12:13], v[160:161], s[16:17], v[30:31]
	v_add_f64 v[4:5], v[18:19], v[4:5]
	v_fma_f64 v[190:191], v[158:159], s[2:3], v[190:191]
	v_add_f64 v[178:179], v[184:185], v[178:179]
	v_mul_f64 v[184:185], v[16:17], s[36:37]
	v_fma_f64 v[222:223], v[160:161], s[28:29], -v[212:213]
	v_fma_f64 v[138:139], v[32:33], s[16:17], v[112:113]
	v_fma_f64 v[18:19], v[160:161], s[16:17], -v[30:31]
	v_add_f64 v[6:7], v[22:23], v[6:7]
	v_add_f64 v[8:9], v[96:97], v[8:9]
	;; [unrolled: 1-line block ×3, first 2 shown]
	v_mul_f64 v[16:17], v[16:17], s[18:19]
	v_mul_f64 v[128:129], v[148:149], s[18:19]
	v_fma_f64 v[22:23], v[38:39], s[14:15], -v[44:45]
	v_add_f64 v[10:11], v[14:15], v[10:11]
	v_fma_f64 v[14:15], v[158:159], s[14:15], v[130:131]
	v_add_f64 v[4:5], v[12:13], v[4:5]
	v_add_f64 v[196:197], v[218:219], v[196:197]
	v_mul_f64 v[218:219], v[148:149], s[36:37]
	v_add_f64 v[178:179], v[190:191], v[178:179]
	v_fma_f64 v[190:191], v[0:1], s[20:21], v[184:185]
	v_fma_f64 v[184:185], v[0:1], s[20:21], -v[184:185]
	v_fma_f64 v[224:225], v[158:159], s[30:31], -v[216:217]
	v_add_f64 v[202:203], v[222:223], v[202:203]
	v_fma_f64 v[42:43], v[38:39], s[14:15], v[44:45]
	v_add_f64 v[116:117], v[138:139], v[116:117]
	v_fma_f64 v[12:13], v[158:159], s[14:15], -v[130:131]
	v_add_f64 v[6:7], v[18:19], v[6:7]
	v_add_f64 v[8:9], v[28:29], v[8:9]
	;; [unrolled: 1-line block ×3, first 2 shown]
	v_fma_f64 v[18:19], v[0:1], s[12:13], -v[16:17]
	v_add_f64 v[10:11], v[22:23], v[10:11]
	v_fma_f64 v[22:23], v[152:153], s[12:13], v[128:129]
	v_add_f64 v[14:15], v[14:15], v[4:5]
	v_add_f64 v[20:21], v[184:185], v[118:119]
	v_fma_f64 v[118:119], v[152:153], s[20:21], v[218:219]
	v_fma_f64 v[198:199], v[152:153], s[14:15], v[198:199]
	v_add_f64 v[196:197], v[220:221], v[196:197]
	v_fma_f64 v[220:221], v[152:153], s[20:21], -v[218:219]
	v_add_f64 v[202:203], v[224:225], v[202:203]
	v_fma_f64 v[16:17], v[0:1], s[12:13], v[16:17]
	v_add_f64 v[26:27], v[42:43], v[116:117]
	v_fma_f64 v[28:29], v[152:153], s[12:13], -v[128:129]
	v_add_f64 v[12:13], v[12:13], v[6:7]
	v_add_f64 v[6:7], v[104:105], v[8:9]
	;; [unrolled: 1-line block ×11, first 2 shown]
	ds_write_b128 v255, v[4:7]
	ds_write_b128 v233, v[0:3] offset:832
	ds_write_b128 v233, v[18:21] offset:1664
	;; [unrolled: 1-line block ×16, first 2 shown]
.LBB0_17:
	s_or_b64 exec, exec, s[0:1]
	s_waitcnt lgkmcnt(0)
	s_barrier
	ds_read_b128 v[0:3], v255
	ds_read_b128 v[4:7], v255 offset:1088
	buffer_load_dword v18, off, s[64:67], 0 offset:200 ; 4-byte Folded Reload
	buffer_load_dword v19, off, s[64:67], 0 offset:204 ; 4-byte Folded Reload
	;; [unrolled: 1-line block ×4, first 2 shown]
	buffer_load_dword v17, off, s[64:67], 0 ; 4-byte Folded Reload
	v_mad_u64_u32 v[8:9], s[0:1], s10, v232, 0
	s_mul_i32 s2, s9, 0x440
	s_mul_hi_u32 s3, s8, 0x440
	s_add_i32 s2, s3, s2
	s_mul_i32 s3, s8, 0x440
	v_mov_b32_e32 v22, s2
	s_waitcnt vmcnt(1) lgkmcnt(1)
	v_mul_f64 v[10:11], v[20:21], v[2:3]
	v_mul_f64 v[12:13], v[20:21], v[0:1]
	v_fma_f64 v[0:1], v[18:19], v[0:1], v[10:11]
	v_fma_f64 v[2:3], v[18:19], v[2:3], -v[12:13]
	buffer_load_dword v18, off, s[64:67], 0 offset:120 ; 4-byte Folded Reload
	buffer_load_dword v19, off, s[64:67], 0 offset:124 ; 4-byte Folded Reload
	buffer_load_dword v20, off, s[64:67], 0 offset:128 ; 4-byte Folded Reload
	buffer_load_dword v21, off, s[64:67], 0 offset:132 ; 4-byte Folded Reload
	v_mad_u64_u32 v[14:15], s[0:1], s11, v232, v[9:10]
	s_waitcnt vmcnt(4)
	v_mad_u64_u32 v[15:16], s[0:1], s8, v17, 0
	v_mov_b32_e32 v9, v14
	v_lshlrev_b64 v[8:9], 4, v[8:9]
	v_mov_b32_e32 v10, v16
	v_mad_u64_u32 v[10:11], s[0:1], s9, v17, v[10:11]
	s_mov_b32 s0, 0x1288b013
	s_mov_b32 s1, 0x3f5288b0
	v_mov_b32_e32 v16, v10
	v_mul_f64 v[0:1], v[0:1], s[0:1]
	v_mul_f64 v[2:3], v[2:3], s[0:1]
	v_mov_b32_e32 v14, s7
	v_add_co_u32_e32 v17, vcc, s6, v8
	v_addc_co_u32_e32 v14, vcc, v14, v9, vcc
	v_lshlrev_b64 v[8:9], 4, v[15:16]
	v_add_co_u32_e32 v16, vcc, v17, v8
	v_addc_co_u32_e32 v17, vcc, v14, v9, vcc
	global_store_dwordx4 v[16:17], v[0:3], off
	v_add_co_u32_e32 v16, vcc, s3, v16
	v_addc_co_u32_e32 v17, vcc, v17, v22, vcc
	s_waitcnt vmcnt(1) lgkmcnt(0)
	v_mul_f64 v[10:11], v[20:21], v[6:7]
	v_mul_f64 v[12:13], v[20:21], v[4:5]
	v_fma_f64 v[10:11], v[18:19], v[4:5], v[10:11]
	v_fma_f64 v[12:13], v[18:19], v[6:7], -v[12:13]
	ds_read_b128 v[4:7], v255 offset:2176
	v_mul_f64 v[0:1], v[10:11], s[0:1]
	ds_read_b128 v[8:11], v255 offset:4352
	buffer_load_dword v23, off, s[64:67], 0 offset:24 ; 4-byte Folded Reload
	buffer_load_dword v24, off, s[64:67], 0 offset:28 ; 4-byte Folded Reload
	;; [unrolled: 1-line block ×4, first 2 shown]
	v_mul_f64 v[2:3], v[12:13], s[0:1]
	ds_read_b128 v[12:15], v233 offset:3264
	s_waitcnt vmcnt(0) lgkmcnt(2)
	v_mul_f64 v[18:19], v[25:26], v[6:7]
	v_mul_f64 v[20:21], v[25:26], v[4:5]
	v_fma_f64 v[4:5], v[23:24], v[4:5], v[18:19]
	v_fma_f64 v[6:7], v[23:24], v[6:7], -v[20:21]
	buffer_load_dword v23, off, s[64:67], 0 offset:72 ; 4-byte Folded Reload
	buffer_load_dword v24, off, s[64:67], 0 offset:76 ; 4-byte Folded Reload
	;; [unrolled: 1-line block ×4, first 2 shown]
	s_waitcnt vmcnt(0) lgkmcnt(0)
	v_mul_f64 v[18:19], v[25:26], v[14:15]
	v_mul_f64 v[20:21], v[25:26], v[12:13]
	global_store_dwordx4 v[16:17], v[0:3], off
	v_add_co_u32_e32 v16, vcc, s3, v16
	v_mul_f64 v[0:1], v[4:5], s[0:1]
	v_mul_f64 v[2:3], v[6:7], s[0:1]
	v_addc_co_u32_e32 v17, vcc, v17, v22, vcc
	v_fma_f64 v[4:5], v[23:24], v[12:13], v[18:19]
	v_fma_f64 v[6:7], v[23:24], v[14:15], -v[20:21]
	buffer_load_dword v18, off, s[64:67], 0 offset:168 ; 4-byte Folded Reload
	buffer_load_dword v19, off, s[64:67], 0 offset:172 ; 4-byte Folded Reload
	;; [unrolled: 1-line block ×4, first 2 shown]
	s_waitcnt vmcnt(0)
	v_mul_f64 v[12:13], v[20:21], v[10:11]
	v_mul_f64 v[14:15], v[20:21], v[8:9]
	global_store_dwordx4 v[16:17], v[0:3], off
	v_add_co_u32_e32 v16, vcc, s3, v16
	v_mul_f64 v[0:1], v[4:5], s[0:1]
	v_mul_f64 v[2:3], v[6:7], s[0:1]
	ds_read_b128 v[4:7], v255 offset:5440
	v_fma_f64 v[12:13], v[18:19], v[8:9], v[12:13]
	v_fma_f64 v[14:15], v[18:19], v[10:11], -v[14:15]
	ds_read_b128 v[8:11], v255 offset:6528
	buffer_load_dword v23, off, s[64:67], 0 offset:88 ; 4-byte Folded Reload
	buffer_load_dword v24, off, s[64:67], 0 offset:92 ; 4-byte Folded Reload
	;; [unrolled: 1-line block ×4, first 2 shown]
	v_addc_co_u32_e32 v17, vcc, v17, v22, vcc
	global_store_dwordx4 v[16:17], v[0:3], off
	v_add_co_u32_e32 v16, vcc, s3, v16
	v_mul_f64 v[0:1], v[12:13], s[0:1]
	v_mul_f64 v[2:3], v[14:15], s[0:1]
	v_addc_co_u32_e32 v17, vcc, v17, v22, vcc
	s_waitcnt vmcnt(1) lgkmcnt(1)
	v_mul_f64 v[18:19], v[25:26], v[6:7]
	v_mul_f64 v[20:21], v[25:26], v[4:5]
	v_fma_f64 v[4:5], v[23:24], v[4:5], v[18:19]
	v_fma_f64 v[6:7], v[23:24], v[6:7], -v[20:21]
	buffer_load_dword v18, off, s[64:67], 0 offset:136 ; 4-byte Folded Reload
	buffer_load_dword v19, off, s[64:67], 0 offset:140 ; 4-byte Folded Reload
	;; [unrolled: 1-line block ×4, first 2 shown]
	s_waitcnt vmcnt(0) lgkmcnt(0)
	v_mul_f64 v[12:13], v[20:21], v[10:11]
	v_mul_f64 v[14:15], v[20:21], v[8:9]
	global_store_dwordx4 v[16:17], v[0:3], off
	v_add_co_u32_e32 v16, vcc, s3, v16
	v_mul_f64 v[0:1], v[4:5], s[0:1]
	v_mul_f64 v[2:3], v[6:7], s[0:1]
	ds_read_b128 v[4:7], v255 offset:7616
	v_fma_f64 v[12:13], v[18:19], v[8:9], v[12:13]
	v_fma_f64 v[14:15], v[18:19], v[10:11], -v[14:15]
	ds_read_b128 v[8:11], v255 offset:8704
	buffer_load_dword v23, off, s[64:67], 0 offset:40 ; 4-byte Folded Reload
	buffer_load_dword v24, off, s[64:67], 0 offset:44 ; 4-byte Folded Reload
	;; [unrolled: 1-line block ×4, first 2 shown]
	v_addc_co_u32_e32 v17, vcc, v17, v22, vcc
	global_store_dwordx4 v[16:17], v[0:3], off
	v_add_co_u32_e32 v16, vcc, s3, v16
	v_mul_f64 v[0:1], v[12:13], s[0:1]
	v_mul_f64 v[2:3], v[14:15], s[0:1]
	v_addc_co_u32_e32 v17, vcc, v17, v22, vcc
	s_waitcnt vmcnt(1) lgkmcnt(1)
	v_mul_f64 v[18:19], v[25:26], v[6:7]
	v_mul_f64 v[20:21], v[25:26], v[4:5]
	v_fma_f64 v[4:5], v[23:24], v[4:5], v[18:19]
	v_fma_f64 v[6:7], v[23:24], v[6:7], -v[20:21]
	buffer_load_dword v18, off, s[64:67], 0 offset:152 ; 4-byte Folded Reload
	buffer_load_dword v19, off, s[64:67], 0 offset:156 ; 4-byte Folded Reload
	;; [unrolled: 1-line block ×4, first 2 shown]
	s_waitcnt vmcnt(0) lgkmcnt(0)
	v_mul_f64 v[12:13], v[20:21], v[10:11]
	v_mul_f64 v[14:15], v[20:21], v[8:9]
	global_store_dwordx4 v[16:17], v[0:3], off
	v_add_co_u32_e32 v16, vcc, s3, v16
	v_mul_f64 v[0:1], v[4:5], s[0:1]
	v_mul_f64 v[2:3], v[6:7], s[0:1]
	ds_read_b128 v[4:7], v255 offset:9792
	v_fma_f64 v[12:13], v[18:19], v[8:9], v[12:13]
	v_fma_f64 v[14:15], v[18:19], v[10:11], -v[14:15]
	ds_read_b128 v[8:11], v255 offset:10880
	buffer_load_dword v23, off, s[64:67], 0 offset:56 ; 4-byte Folded Reload
	buffer_load_dword v24, off, s[64:67], 0 offset:60 ; 4-byte Folded Reload
	;; [unrolled: 1-line block ×4, first 2 shown]
	v_addc_co_u32_e32 v17, vcc, v17, v22, vcc
	global_store_dwordx4 v[16:17], v[0:3], off
	v_add_co_u32_e32 v16, vcc, s3, v16
	v_mul_f64 v[0:1], v[12:13], s[0:1]
	v_mul_f64 v[2:3], v[14:15], s[0:1]
	v_addc_co_u32_e32 v17, vcc, v17, v22, vcc
	s_waitcnt vmcnt(1) lgkmcnt(1)
	v_mul_f64 v[18:19], v[25:26], v[6:7]
	v_mul_f64 v[20:21], v[25:26], v[4:5]
	v_fma_f64 v[4:5], v[23:24], v[4:5], v[18:19]
	v_fma_f64 v[6:7], v[23:24], v[6:7], -v[20:21]
	buffer_load_dword v23, off, s[64:67], 0 offset:184 ; 4-byte Folded Reload
	buffer_load_dword v24, off, s[64:67], 0 offset:188 ; 4-byte Folded Reload
	;; [unrolled: 1-line block ×4, first 2 shown]
	v_mov_b32_e32 v18, s2
	global_store_dwordx4 v[16:17], v[0:3], off
	v_add_co_u32_e32 v16, vcc, s3, v16
	v_addc_co_u32_e32 v17, vcc, v17, v18, vcc
	v_mul_f64 v[0:1], v[4:5], s[0:1]
	v_mul_f64 v[2:3], v[6:7], s[0:1]
	s_waitcnt vmcnt(1) lgkmcnt(0)
	v_mul_f64 v[12:13], v[25:26], v[10:11]
	v_mul_f64 v[14:15], v[25:26], v[8:9]
	v_fma_f64 v[12:13], v[23:24], v[8:9], v[12:13]
	v_fma_f64 v[14:15], v[23:24], v[10:11], -v[14:15]
	ds_read_b128 v[4:7], v255 offset:11968
	ds_read_b128 v[8:11], v255 offset:13056
	buffer_load_dword v26, off, s[64:67], 0 offset:8 ; 4-byte Folded Reload
	buffer_load_dword v27, off, s[64:67], 0 offset:12 ; 4-byte Folded Reload
	;; [unrolled: 1-line block ×4, first 2 shown]
	s_waitcnt vmcnt(0) lgkmcnt(1)
	v_mul_f64 v[18:19], v[28:29], v[6:7]
	v_mul_f64 v[20:21], v[28:29], v[4:5]
	buffer_load_dword v28, off, s[64:67], 0 offset:104 ; 4-byte Folded Reload
	buffer_load_dword v29, off, s[64:67], 0 offset:108 ; 4-byte Folded Reload
	;; [unrolled: 1-line block ×4, first 2 shown]
	v_fma_f64 v[4:5], v[26:27], v[4:5], v[18:19]
	global_store_dwordx4 v[16:17], v[0:3], off
	v_fma_f64 v[6:7], v[26:27], v[6:7], -v[20:21]
	v_mul_f64 v[0:1], v[12:13], s[0:1]
	v_mul_f64 v[2:3], v[14:15], s[0:1]
	v_mov_b32_e32 v13, s2
	v_add_co_u32_e32 v12, vcc, s3, v16
	v_addc_co_u32_e32 v13, vcc, v17, v13, vcc
	v_mov_b32_e32 v14, s2
	global_store_dwordx4 v[12:13], v[0:3], off
	s_nop 0
	v_mul_f64 v[0:1], v[4:5], s[0:1]
	v_mul_f64 v[2:3], v[6:7], s[0:1]
	s_waitcnt vmcnt(2) lgkmcnt(0)
	v_mul_f64 v[22:23], v[30:31], v[10:11]
	v_mul_f64 v[24:25], v[30:31], v[8:9]
	v_fma_f64 v[8:9], v[28:29], v[8:9], v[22:23]
	v_fma_f64 v[10:11], v[28:29], v[10:11], -v[24:25]
	v_mul_f64 v[4:5], v[8:9], s[0:1]
	v_mul_f64 v[6:7], v[10:11], s[0:1]
	v_add_co_u32_e32 v8, vcc, s3, v12
	v_addc_co_u32_e32 v9, vcc, v13, v14, vcc
	global_store_dwordx4 v[8:9], v[0:3], off
	s_nop 0
	v_mov_b32_e32 v1, s2
	v_add_co_u32_e32 v0, vcc, s3, v8
	v_addc_co_u32_e32 v1, vcc, v9, v1, vcc
	global_store_dwordx4 v[0:1], v[4:7], off
.LBB0_18:
	s_endpgm
	.section	.rodata,"a",@progbits
	.p2align	6, 0x0
	.amdhsa_kernel bluestein_single_back_len884_dim1_dp_op_CI_CI
		.amdhsa_group_segment_fixed_size 42432
		.amdhsa_private_segment_fixed_size 1024
		.amdhsa_kernarg_size 104
		.amdhsa_user_sgpr_count 6
		.amdhsa_user_sgpr_private_segment_buffer 1
		.amdhsa_user_sgpr_dispatch_ptr 0
		.amdhsa_user_sgpr_queue_ptr 0
		.amdhsa_user_sgpr_kernarg_segment_ptr 1
		.amdhsa_user_sgpr_dispatch_id 0
		.amdhsa_user_sgpr_flat_scratch_init 0
		.amdhsa_user_sgpr_private_segment_size 0
		.amdhsa_uses_dynamic_stack 0
		.amdhsa_system_sgpr_private_segment_wavefront_offset 1
		.amdhsa_system_sgpr_workgroup_id_x 1
		.amdhsa_system_sgpr_workgroup_id_y 0
		.amdhsa_system_sgpr_workgroup_id_z 0
		.amdhsa_system_sgpr_workgroup_info 0
		.amdhsa_system_vgpr_workitem_id 0
		.amdhsa_next_free_vgpr 256
		.amdhsa_next_free_sgpr 68
		.amdhsa_reserve_vcc 1
		.amdhsa_reserve_flat_scratch 0
		.amdhsa_float_round_mode_32 0
		.amdhsa_float_round_mode_16_64 0
		.amdhsa_float_denorm_mode_32 3
		.amdhsa_float_denorm_mode_16_64 3
		.amdhsa_dx10_clamp 1
		.amdhsa_ieee_mode 1
		.amdhsa_fp16_overflow 0
		.amdhsa_exception_fp_ieee_invalid_op 0
		.amdhsa_exception_fp_denorm_src 0
		.amdhsa_exception_fp_ieee_div_zero 0
		.amdhsa_exception_fp_ieee_overflow 0
		.amdhsa_exception_fp_ieee_underflow 0
		.amdhsa_exception_fp_ieee_inexact 0
		.amdhsa_exception_int_div_zero 0
	.end_amdhsa_kernel
	.text
.Lfunc_end0:
	.size	bluestein_single_back_len884_dim1_dp_op_CI_CI, .Lfunc_end0-bluestein_single_back_len884_dim1_dp_op_CI_CI
                                        ; -- End function
	.section	.AMDGPU.csdata,"",@progbits
; Kernel info:
; codeLenInByte = 33148
; NumSgprs: 72
; NumVgprs: 256
; ScratchSize: 1024
; MemoryBound: 0
; FloatMode: 240
; IeeeMode: 1
; LDSByteSize: 42432 bytes/workgroup (compile time only)
; SGPRBlocks: 8
; VGPRBlocks: 63
; NumSGPRsForWavesPerEU: 72
; NumVGPRsForWavesPerEU: 256
; Occupancy: 1
; WaveLimiterHint : 1
; COMPUTE_PGM_RSRC2:SCRATCH_EN: 1
; COMPUTE_PGM_RSRC2:USER_SGPR: 6
; COMPUTE_PGM_RSRC2:TRAP_HANDLER: 0
; COMPUTE_PGM_RSRC2:TGID_X_EN: 1
; COMPUTE_PGM_RSRC2:TGID_Y_EN: 0
; COMPUTE_PGM_RSRC2:TGID_Z_EN: 0
; COMPUTE_PGM_RSRC2:TIDIG_COMP_CNT: 0
	.type	__hip_cuid_41ed233e951f3dfb,@object ; @__hip_cuid_41ed233e951f3dfb
	.section	.bss,"aw",@nobits
	.globl	__hip_cuid_41ed233e951f3dfb
__hip_cuid_41ed233e951f3dfb:
	.byte	0                               ; 0x0
	.size	__hip_cuid_41ed233e951f3dfb, 1

	.ident	"AMD clang version 19.0.0git (https://github.com/RadeonOpenCompute/llvm-project roc-6.4.0 25133 c7fe45cf4b819c5991fe208aaa96edf142730f1d)"
	.section	".note.GNU-stack","",@progbits
	.addrsig
	.addrsig_sym __hip_cuid_41ed233e951f3dfb
	.amdgpu_metadata
---
amdhsa.kernels:
  - .args:
      - .actual_access:  read_only
        .address_space:  global
        .offset:         0
        .size:           8
        .value_kind:     global_buffer
      - .actual_access:  read_only
        .address_space:  global
        .offset:         8
        .size:           8
        .value_kind:     global_buffer
      - .actual_access:  read_only
        .address_space:  global
        .offset:         16
        .size:           8
        .value_kind:     global_buffer
      - .actual_access:  read_only
        .address_space:  global
        .offset:         24
        .size:           8
        .value_kind:     global_buffer
      - .actual_access:  read_only
        .address_space:  global
        .offset:         32
        .size:           8
        .value_kind:     global_buffer
      - .offset:         40
        .size:           8
        .value_kind:     by_value
      - .address_space:  global
        .offset:         48
        .size:           8
        .value_kind:     global_buffer
      - .address_space:  global
        .offset:         56
        .size:           8
        .value_kind:     global_buffer
      - .address_space:  global
        .offset:         64
        .size:           8
        .value_kind:     global_buffer
      - .address_space:  global
        .offset:         72
        .size:           8
        .value_kind:     global_buffer
      - .offset:         80
        .size:           4
        .value_kind:     by_value
      - .address_space:  global
        .offset:         88
        .size:           8
        .value_kind:     global_buffer
      - .address_space:  global
        .offset:         96
        .size:           8
        .value_kind:     global_buffer
    .group_segment_fixed_size: 42432
    .kernarg_segment_align: 8
    .kernarg_segment_size: 104
    .language:       OpenCL C
    .language_version:
      - 2
      - 0
    .max_flat_workgroup_size: 204
    .name:           bluestein_single_back_len884_dim1_dp_op_CI_CI
    .private_segment_fixed_size: 1024
    .sgpr_count:     72
    .sgpr_spill_count: 0
    .symbol:         bluestein_single_back_len884_dim1_dp_op_CI_CI.kd
    .uniform_work_group_size: 1
    .uses_dynamic_stack: false
    .vgpr_count:     256
    .vgpr_spill_count: 255
    .wavefront_size: 64
amdhsa.target:   amdgcn-amd-amdhsa--gfx906
amdhsa.version:
  - 1
  - 2
...

	.end_amdgpu_metadata
